;; amdgpu-corpus repo=ROCm/rocFFT kind=compiled arch=gfx950 opt=O3
	.text
	.amdgcn_target "amdgcn-amd-amdhsa--gfx950"
	.amdhsa_code_object_version 6
	.protected	fft_rtc_back_len208_factors_13_16_wgs_144_tpt_16_sp_ip_CI_sbcc_twdbase5_3step_dirReg_intrinsicReadWrite ; -- Begin function fft_rtc_back_len208_factors_13_16_wgs_144_tpt_16_sp_ip_CI_sbcc_twdbase5_3step_dirReg_intrinsicReadWrite
	.globl	fft_rtc_back_len208_factors_13_16_wgs_144_tpt_16_sp_ip_CI_sbcc_twdbase5_3step_dirReg_intrinsicReadWrite
	.p2align	8
	.type	fft_rtc_back_len208_factors_13_16_wgs_144_tpt_16_sp_ip_CI_sbcc_twdbase5_3step_dirReg_intrinsicReadWrite,@function
fft_rtc_back_len208_factors_13_16_wgs_144_tpt_16_sp_ip_CI_sbcc_twdbase5_3step_dirReg_intrinsicReadWrite: ; @fft_rtc_back_len208_factors_13_16_wgs_144_tpt_16_sp_ip_CI_sbcc_twdbase5_3step_dirReg_intrinsicReadWrite
; %bb.0:
	s_load_dwordx8 s[4:11], s[0:1], 0x8
	s_movk_i32 s3, 0x60
	v_cmp_gt_u32_e32 vcc, s3, v0
	s_and_saveexec_b64 s[12:13], vcc
	s_cbranch_execz .LBB0_2
; %bb.1:
	v_lshlrev_b32_e32 v1, 3, v0
	s_waitcnt lgkmcnt(0)
	global_load_dwordx2 v[2:3], v1, s[4:5]
	v_add_u32_e32 v1, 0, v1
	s_waitcnt vmcnt(0)
	ds_write_b64 v1, v[2:3] offset:14976
.LBB0_2:
	s_or_b64 exec, exec, s[12:13]
	s_waitcnt lgkmcnt(0)
	s_load_dwordx2 s[4:5], s[8:9], 0x8
	s_mov_b32 s3, 0
	s_mov_b64 s[24:25], 0
	s_waitcnt lgkmcnt(0)
	s_add_u32 s12, s4, -1
	s_addc_u32 s13, s5, -1
	s_add_u32 s14, 0, 0x71c4fc00
	s_addc_u32 s15, 0, 0x7c
	s_mul_hi_u32 s17, s14, -9
	s_add_i32 s15, s15, 0x1c71c6a0
	s_sub_i32 s17, s17, s14
	s_mul_i32 s20, s15, -9
	s_mul_i32 s16, s14, -9
	s_add_i32 s17, s17, s20
	s_mul_hi_u32 s18, s15, s16
	s_mul_i32 s19, s15, s16
	s_mul_i32 s21, s14, s17
	s_mul_hi_u32 s16, s14, s16
	s_mul_hi_u32 s20, s14, s17
	s_add_u32 s16, s16, s21
	s_addc_u32 s20, 0, s20
	s_add_u32 s16, s16, s19
	s_mul_hi_u32 s21, s15, s17
	s_addc_u32 s16, s20, s18
	s_addc_u32 s18, s21, 0
	s_mul_i32 s17, s15, s17
	s_add_u32 s16, s16, s17
	v_mov_b32_e32 v1, s16
	s_addc_u32 s17, 0, s18
	v_add_co_u32_e32 v1, vcc, s14, v1
	s_cmp_lg_u64 vcc, 0
	s_addc_u32 s14, s15, s17
	v_readfirstlane_b32 s17, v1
	s_mul_i32 s16, s12, s14
	s_mul_hi_u32 s18, s12, s17
	s_mul_hi_u32 s15, s12, s14
	s_add_u32 s16, s18, s16
	s_addc_u32 s15, 0, s15
	s_mul_hi_u32 s19, s13, s17
	s_mul_i32 s17, s13, s17
	s_add_u32 s16, s16, s17
	s_mul_hi_u32 s18, s13, s14
	s_addc_u32 s15, s15, s19
	s_addc_u32 s16, s18, 0
	s_mul_i32 s14, s13, s14
	s_add_u32 s14, s15, s14
	s_addc_u32 s15, 0, s16
	s_add_u32 s16, s14, 1
	s_addc_u32 s17, s15, 0
	s_add_u32 s18, s14, 2
	s_mul_i32 s20, s15, 9
	s_mul_hi_u32 s21, s14, 9
	s_addc_u32 s19, s15, 0
	s_add_i32 s21, s21, s20
	s_mul_i32 s20, s14, 9
	v_mov_b32_e32 v1, s20
	v_sub_co_u32_e32 v1, vcc, s12, v1
	s_cmp_lg_u64 vcc, 0
	s_subb_u32 s12, s13, s21
	v_subrev_co_u32_e32 v2, vcc, 9, v1
	s_cmp_lg_u64 vcc, 0
	s_subb_u32 s13, s12, 0
	v_readfirstlane_b32 s20, v2
	s_cmp_gt_u32 s20, 8
	s_cselect_b32 s20, -1, 0
	s_cmp_eq_u32 s13, 0
	s_cselect_b32 s13, s20, -1
	s_cmp_lg_u32 s13, 0
	s_cselect_b32 s13, s18, s16
	s_cselect_b32 s16, s19, s17
	v_readfirstlane_b32 s17, v1
	s_cmp_gt_u32 s17, 8
	s_cselect_b32 s17, -1, 0
	s_cmp_eq_u32 s12, 0
	s_cselect_b32 s12, s17, -1
	s_cmp_lg_u32 s12, 0
	s_cselect_b32 s13, s13, s14
	s_cselect_b32 s12, s16, s15
	s_add_u32 s20, s13, 1
	s_addc_u32 s21, s12, 0
	v_mov_b64_e32 v[2:3], s[20:21]
	v_cmp_lt_u64_e32 vcc, s[2:3], v[2:3]
	s_cbranch_vccnz .LBB0_4
; %bb.3:
	v_cvt_f32_u32_e32 v1, s20
	s_sub_i32 s12, 0, s20
	s_mov_b32 s25, s3
	v_rcp_iflag_f32_e32 v1, v1
	s_nop 0
	v_mul_f32_e32 v1, 0x4f7ffffe, v1
	v_cvt_u32_f32_e32 v1, v1
	s_nop 0
	v_readfirstlane_b32 s13, v1
	s_mul_i32 s12, s12, s13
	s_mul_hi_u32 s12, s13, s12
	s_add_i32 s13, s13, s12
	s_mul_hi_u32 s12, s2, s13
	s_mul_i32 s14, s12, s20
	s_sub_i32 s14, s2, s14
	s_add_i32 s13, s12, 1
	s_sub_i32 s15, s14, s20
	s_cmp_ge_u32 s14, s20
	s_cselect_b32 s12, s13, s12
	s_cselect_b32 s14, s15, s14
	s_add_i32 s13, s12, 1
	s_cmp_ge_u32 s14, s20
	s_cselect_b32 s24, s13, s12
.LBB0_4:
	s_load_dwordx2 s[16:17], s[0:1], 0x58
	s_load_dwordx2 s[18:19], s[0:1], 0x0
	s_load_dwordx4 s[12:15], s[10:11], 0x0
	s_mul_i32 s0, s24, s21
	s_mul_hi_u32 s1, s24, s20
	s_add_i32 s1, s1, s0
	s_mul_i32 s0, s24, s20
	s_sub_u32 s0, s2, s0
	s_subb_u32 s1, 0, s1
	s_mul_i32 s1, s1, 9
	s_waitcnt lgkmcnt(0)
	s_mul_hi_u32 s13, s0, 9
	s_add_i32 s23, s13, s1
	s_mul_i32 s22, s0, 9
	s_mul_i32 s0, s14, s23
	s_mul_hi_u32 s1, s14, s22
	s_add_i32 s0, s1, s0
	s_mul_i32 s1, s15, s22
	s_add_i32 s15, s0, s1
	v_cmp_lt_u64_e64 s[0:1], s[6:7], 3
	s_mul_i32 s13, s14, s22
	s_and_b64 vcc, exec, s[0:1]
	s_cbranch_vccnz .LBB0_14
; %bb.5:
	s_add_u32 s26, s10, 16
	s_addc_u32 s27, s11, 0
	s_add_u32 s8, s8, 16
	s_addc_u32 s9, s9, 0
	s_mov_b64 s[28:29], 2
	s_mov_b32 s30, 0
	v_mov_b64_e32 v[2:3], s[6:7]
.LBB0_6:                                ; =>This Inner Loop Header: Depth=1
	s_load_dwordx2 s[34:35], s[8:9], 0x0
	s_waitcnt lgkmcnt(0)
	s_or_b64 s[0:1], s[24:25], s[34:35]
	s_mov_b32 s31, s1
	s_cmp_lg_u64 s[30:31], 0
	s_cbranch_scc0 .LBB0_11
; %bb.7:                                ;   in Loop: Header=BB0_6 Depth=1
	v_cvt_f32_u32_e32 v1, s34
	v_cvt_f32_u32_e32 v4, s35
	s_sub_u32 s0, 0, s34
	s_subb_u32 s1, 0, s35
	v_fmac_f32_e32 v1, 0x4f800000, v4
	v_rcp_f32_e32 v1, v1
	s_nop 0
	v_mul_f32_e32 v1, 0x5f7ffffc, v1
	v_mul_f32_e32 v4, 0x2f800000, v1
	v_trunc_f32_e32 v4, v4
	v_fmac_f32_e32 v1, 0xcf800000, v4
	v_cvt_u32_f32_e32 v4, v4
	v_cvt_u32_f32_e32 v1, v1
	v_readfirstlane_b32 s31, v4
	v_readfirstlane_b32 s33, v1
	s_mul_i32 s36, s0, s31
	s_mul_hi_u32 s38, s0, s33
	s_mul_i32 s37, s1, s33
	s_add_i32 s36, s38, s36
	s_mul_i32 s39, s0, s33
	s_add_i32 s36, s36, s37
	s_mul_hi_u32 s37, s33, s36
	s_mul_i32 s38, s33, s36
	s_mul_hi_u32 s33, s33, s39
	s_add_u32 s33, s33, s38
	s_addc_u32 s37, 0, s37
	s_mul_hi_u32 s40, s31, s39
	s_mul_i32 s39, s31, s39
	s_add_u32 s33, s33, s39
	s_mul_hi_u32 s38, s31, s36
	s_addc_u32 s33, s37, s40
	s_addc_u32 s37, s38, 0
	s_mul_i32 s36, s31, s36
	s_add_u32 s33, s33, s36
	s_addc_u32 s36, 0, s37
	v_add_co_u32_e32 v1, vcc, s33, v1
	s_cmp_lg_u64 vcc, 0
	s_addc_u32 s31, s31, s36
	v_readfirstlane_b32 s36, v1
	s_mul_i32 s33, s0, s31
	s_mul_hi_u32 s37, s0, s36
	s_add_i32 s33, s37, s33
	s_mul_i32 s1, s1, s36
	s_add_i32 s33, s33, s1
	s_mul_i32 s0, s0, s36
	s_mul_hi_u32 s37, s31, s0
	s_mul_i32 s38, s31, s0
	s_mul_i32 s40, s36, s33
	s_mul_hi_u32 s0, s36, s0
	s_mul_hi_u32 s39, s36, s33
	s_add_u32 s0, s0, s40
	s_addc_u32 s36, 0, s39
	s_add_u32 s0, s0, s38
	s_mul_hi_u32 s1, s31, s33
	s_addc_u32 s0, s36, s37
	s_addc_u32 s1, s1, 0
	s_mul_i32 s33, s31, s33
	s_add_u32 s0, s0, s33
	s_addc_u32 s1, 0, s1
	v_add_co_u32_e32 v1, vcc, s0, v1
	s_cmp_lg_u64 vcc, 0
	s_addc_u32 s0, s31, s1
	v_readfirstlane_b32 s33, v1
	s_mul_i32 s31, s24, s0
	s_mul_hi_u32 s36, s24, s33
	s_mul_hi_u32 s1, s24, s0
	s_add_u32 s31, s36, s31
	s_addc_u32 s1, 0, s1
	s_mul_hi_u32 s37, s25, s33
	s_mul_i32 s33, s25, s33
	s_add_u32 s31, s31, s33
	s_mul_hi_u32 s36, s25, s0
	s_addc_u32 s1, s1, s37
	s_addc_u32 s31, s36, 0
	s_mul_i32 s0, s25, s0
	s_add_u32 s33, s1, s0
	s_addc_u32 s31, 0, s31
	s_mul_i32 s0, s34, s31
	s_mul_hi_u32 s1, s34, s33
	s_add_i32 s0, s1, s0
	s_mul_i32 s1, s35, s33
	s_add_i32 s36, s0, s1
	s_mul_i32 s1, s34, s33
	v_mov_b32_e32 v1, s1
	s_sub_i32 s0, s25, s36
	v_sub_co_u32_e32 v1, vcc, s24, v1
	s_cmp_lg_u64 vcc, 0
	s_subb_u32 s37, s0, s35
	v_subrev_co_u32_e64 v4, s[0:1], s34, v1
	s_cmp_lg_u64 s[0:1], 0
	s_subb_u32 s0, s37, 0
	s_cmp_ge_u32 s0, s35
	v_readfirstlane_b32 s37, v4
	s_cselect_b32 s1, -1, 0
	s_cmp_ge_u32 s37, s34
	s_cselect_b32 s37, -1, 0
	s_cmp_eq_u32 s0, s35
	s_cselect_b32 s0, s37, s1
	s_add_u32 s1, s33, 1
	s_addc_u32 s37, s31, 0
	s_add_u32 s38, s33, 2
	s_addc_u32 s39, s31, 0
	s_cmp_lg_u32 s0, 0
	s_cselect_b32 s0, s38, s1
	s_cselect_b32 s1, s39, s37
	s_cmp_lg_u64 vcc, 0
	s_subb_u32 s36, s25, s36
	s_cmp_ge_u32 s36, s35
	v_readfirstlane_b32 s38, v1
	s_cselect_b32 s37, -1, 0
	s_cmp_ge_u32 s38, s34
	s_cselect_b32 s38, -1, 0
	s_cmp_eq_u32 s36, s35
	s_cselect_b32 s36, s38, s37
	s_cmp_lg_u32 s36, 0
	s_cselect_b32 s1, s1, s31
	s_cselect_b32 s0, s0, s33
	s_cbranch_execnz .LBB0_9
.LBB0_8:                                ;   in Loop: Header=BB0_6 Depth=1
	v_cvt_f32_u32_e32 v1, s34
	s_sub_i32 s0, 0, s34
	v_rcp_iflag_f32_e32 v1, v1
	s_nop 0
	v_mul_f32_e32 v1, 0x4f7ffffe, v1
	v_cvt_u32_f32_e32 v1, v1
	s_nop 0
	v_readfirstlane_b32 s1, v1
	s_mul_i32 s0, s0, s1
	s_mul_hi_u32 s0, s1, s0
	s_add_i32 s1, s1, s0
	s_mul_hi_u32 s0, s24, s1
	s_mul_i32 s31, s0, s34
	s_sub_i32 s31, s24, s31
	s_add_i32 s1, s0, 1
	s_sub_i32 s33, s31, s34
	s_cmp_ge_u32 s31, s34
	s_cselect_b32 s0, s1, s0
	s_cselect_b32 s31, s33, s31
	s_add_i32 s1, s0, 1
	s_cmp_ge_u32 s31, s34
	s_cselect_b32 s0, s1, s0
	s_mov_b32 s1, s30
.LBB0_9:                                ;   in Loop: Header=BB0_6 Depth=1
	s_mul_i32 s21, s34, s21
	s_mul_hi_u32 s31, s34, s20
	s_add_i32 s21, s31, s21
	s_mul_i32 s31, s35, s20
	s_add_i32 s21, s21, s31
	s_mul_i32 s31, s0, s35
	s_mul_hi_u32 s33, s0, s34
	s_load_dwordx2 s[36:37], s[26:27], 0x0
	s_add_i32 s31, s33, s31
	s_mul_i32 s33, s1, s34
	s_add_i32 s31, s31, s33
	s_mul_i32 s33, s0, s34
	s_sub_u32 s24, s24, s33
	s_subb_u32 s25, s25, s31
	s_waitcnt lgkmcnt(0)
	s_mul_i32 s25, s36, s25
	s_mul_hi_u32 s31, s36, s24
	s_add_i32 s25, s31, s25
	s_mul_i32 s31, s37, s24
	s_add_i32 s25, s25, s31
	s_mul_i32 s24, s36, s24
	s_add_u32 s13, s24, s13
	s_addc_u32 s15, s25, s15
	s_add_u32 s28, s28, 1
	s_addc_u32 s29, s29, 0
	;; [unrolled: 2-line block ×3, first 2 shown]
	s_add_u32 s8, s8, 8
	v_cmp_ge_u64_e32 vcc, s[28:29], v[2:3]
	s_mul_i32 s20, s34, s20
	s_addc_u32 s9, s9, 0
	s_cbranch_vccnz .LBB0_12
; %bb.10:                               ;   in Loop: Header=BB0_6 Depth=1
	s_mov_b64 s[24:25], s[0:1]
	s_branch .LBB0_6
.LBB0_11:                               ;   in Loop: Header=BB0_6 Depth=1
                                        ; implicit-def: $sgpr0_sgpr1
	s_branch .LBB0_8
.LBB0_12:
	v_mov_b64_e32 v[2:3], s[20:21]
	v_cmp_lt_u64_e32 vcc, s[2:3], v[2:3]
	s_mov_b64 s[24:25], 0
	s_cbranch_vccnz .LBB0_14
; %bb.13:
	v_cvt_f32_u32_e32 v1, s20
	s_sub_i32 s0, 0, s20
	v_rcp_iflag_f32_e32 v1, v1
	s_nop 0
	v_mul_f32_e32 v1, 0x4f7ffffe, v1
	v_cvt_u32_f32_e32 v1, v1
	s_nop 0
	v_readfirstlane_b32 s1, v1
	s_mul_i32 s0, s0, s1
	s_mul_hi_u32 s0, s1, s0
	s_add_i32 s1, s1, s0
	s_mul_hi_u32 s0, s2, s1
	s_mul_i32 s3, s0, s20
	s_sub_i32 s2, s2, s3
	s_add_i32 s1, s0, 1
	s_sub_i32 s3, s2, s20
	s_cmp_ge_u32 s2, s20
	s_cselect_b32 s0, s1, s0
	s_cselect_b32 s2, s3, s2
	s_add_i32 s1, s0, 1
	s_cmp_ge_u32 s2, s20
	s_cselect_b32 s24, s1, s0
.LBB0_14:
	s_lshl_b64 s[0:1], s[6:7], 3
	s_add_u32 s0, s10, s0
	s_addc_u32 s1, s11, s1
	s_load_dwordx2 s[0:1], s[0:1], 0x0
	s_waitcnt lgkmcnt(0)
	s_mov_b32 s1, 0x1c71c71d
	v_mul_hi_u32 v1, v0, s1
	v_mul_u32_u24_e32 v2, 9, v1
	v_sub_u32_e32 v16, v0, v2
	s_mul_i32 s0, s0, s24
	s_add_u32 s13, s0, s13
	v_mov_b32_e32 v2, 0
	s_add_u32 s0, s22, 9
	v_mov_b32_e32 v17, v2
	s_addc_u32 s1, s23, 0
	v_mov_b64_e32 v[4:5], s[4:5]
	v_lshl_add_u64 v[48:49], s[22:23], 0, v[16:17]
	v_cmp_le_u64_e32 vcc, s[0:1], v[4:5]
	v_mad_u64_u32 v[46:47], s[0:1], s14, v16, 0
	v_cmp_gt_u64_e64 s[0:1], s[4:5], v[48:49]
	s_or_b64 s[2:3], vcc, s[0:1]
	v_mov_b32_e32 v10, 0
	v_mov_b32_e32 v11, 0
	s_and_saveexec_b64 s[4:5], s[2:3]
	s_cbranch_execz .LBB0_16
; %bb.15:
	v_mul_lo_u32 v3, s12, v1
	v_add3_u32 v4, s13, v46, v3
	v_mov_b32_e32 v5, v2
	v_lshl_add_u64 v[4:5], v[4:5], 3, s[16:17]
	global_load_dwordx2 v[10:11], v[4:5], off
.LBB0_16:
	s_or_b64 exec, exec, s[4:5]
	v_mov_b32_e32 v3, 0
	s_and_saveexec_b64 s[4:5], s[2:3]
	s_cbranch_execz .LBB0_18
; %bb.17:
	v_add_u32_e32 v2, 16, v1
	v_mul_lo_u32 v2, s12, v2
	v_add3_u32 v2, s13, v46, v2
	v_mov_b32_e32 v3, 0
	v_lshl_add_u64 v[2:3], v[2:3], 3, s[16:17]
	global_load_dwordx2 v[2:3], v[2:3], off
.LBB0_18:
	s_or_b64 exec, exec, s[4:5]
	v_mov_b32_e32 v4, 0
	v_mov_b32_e32 v6, 0
	v_mov_b32_e32 v7, 0
	s_and_saveexec_b64 s[4:5], s[2:3]
	s_cbranch_execz .LBB0_20
; %bb.19:
	v_or_b32_e32 v5, 32, v1
	v_mul_lo_u32 v5, s12, v5
	v_add3_u32 v6, s13, v46, v5
	v_mov_b32_e32 v7, 0
	v_lshl_add_u64 v[6:7], v[6:7], 3, s[16:17]
	global_load_dwordx2 v[6:7], v[6:7], off
.LBB0_20:
	s_or_b64 exec, exec, s[4:5]
	v_mov_b32_e32 v5, 0
	s_and_saveexec_b64 s[4:5], s[2:3]
	s_cbranch_execz .LBB0_22
; %bb.21:
	v_add_u32_e32 v4, 48, v1
	v_mul_lo_u32 v4, s12, v4
	v_add3_u32 v4, s13, v46, v4
	v_mov_b32_e32 v5, 0
	v_lshl_add_u64 v[4:5], v[4:5], 3, s[16:17]
	global_load_dwordx2 v[4:5], v[4:5], off
.LBB0_22:
	s_or_b64 exec, exec, s[4:5]
	v_mov_b32_e32 v8, 0
	v_mov_b32_e32 v12, 0
	v_mov_b32_e32 v13, 0
	s_and_saveexec_b64 s[4:5], s[2:3]
	s_cbranch_execz .LBB0_24
; %bb.23:
	v_or_b32_e32 v9, 64, v1
	v_mul_lo_u32 v9, s12, v9
	v_add3_u32 v12, s13, v46, v9
	v_mov_b32_e32 v13, 0
	v_lshl_add_u64 v[12:13], v[12:13], 3, s[16:17]
	global_load_dwordx2 v[12:13], v[12:13], off
.LBB0_24:
	;; [unrolled: 26-line block ×5, first 2 shown]
	s_or_b64 exec, exec, s[4:5]
	v_mov_b32_e32 v25, 0
	s_and_saveexec_b64 s[4:5], s[2:3]
	s_cbranch_execz .LBB0_38
; %bb.37:
	v_add_u32_e32 v17, 0xb0, v1
	v_mul_lo_u32 v17, s12, v17
	v_add3_u32 v24, s13, v46, v17
	v_mov_b32_e32 v25, 0
	v_lshl_add_u64 v[24:25], v[24:25], 3, s[16:17]
	global_load_dwordx2 v[24:25], v[24:25], off
.LBB0_38:
	s_or_b64 exec, exec, s[4:5]
	v_mov_b32_e32 v32, 0
	v_mov_b32_e32 v33, 0
	s_and_saveexec_b64 s[4:5], s[2:3]
	s_cbranch_execz .LBB0_40
; %bb.39:
	v_or_b32_e32 v17, 0xc0, v1
	v_mul_lo_u32 v17, s12, v17
	v_add3_u32 v26, s13, v46, v17
	v_mov_b32_e32 v27, 0
	v_lshl_add_u64 v[26:27], v[26:27], 3, s[16:17]
	global_load_dwordx2 v[32:33], v[26:27], off
.LBB0_40:
	s_or_b64 exec, exec, s[4:5]
	s_waitcnt vmcnt(0)
	v_pk_add_f32 v[26:27], v[10:11], v[2:3]
	v_pk_add_f32 v[42:43], v[2:3], v[32:33]
	;; [unrolled: 1-line block ×3, first 2 shown]
	v_pk_add_f32 v[44:45], v[2:3], v[32:33] neg_lo:[0,1] neg_hi:[0,1]
	v_pk_add_f32 v[26:27], v[26:27], v[4:5]
	v_pk_add_f32 v[38:39], v[6:7], v[24:25]
	;; [unrolled: 1-line block ×3, first 2 shown]
	v_pk_add_f32 v[40:41], v[6:7], v[24:25] neg_lo:[0,1] neg_hi:[0,1]
	v_pk_add_f32 v[26:27], v[26:27], v[8:9]
	v_mov_b32_e32 v82, v45
	v_pk_add_f32 v[26:27], v[26:27], v[30:31]
	v_mov_b32_e32 v83, v43
	v_pk_add_f32 v[26:27], v[26:27], v[20:21]
	s_mov_b32 s3, 0x3f62ad3f
	v_pk_add_f32 v[26:27], v[26:27], v[14:15]
	s_mov_b32 s2, 0xbeedf032
	;; [unrolled: 2-line block ×3, first 2 shown]
	v_pk_add_f32 v[26:27], v[26:27], v[22:23]
	v_pk_mul_f32 v[56:57], v[82:83], s[2:3]
	v_mov_b32_e32 v50, v42
	v_mov_b32_e32 v51, v44
	s_mov_b32 s10, s3
	s_mov_b32 s11, s2
	v_mov_b32_e32 v92, v41
	v_mov_b32_e32 v93, v39
	s_mov_b32 s27, 0x3f116cb1
	v_pk_add_f32 v[34:35], v[26:27], v[24:25]
	v_pk_add_f32 v[26:27], v[4:5], v[22:23]
	v_pk_add_f32 v[28:29], v[4:5], v[22:23] neg_lo:[0,1] neg_hi:[0,1]
	v_pk_fma_f32 v[2:3], v[50:51], s[10:11], v[56:57] neg_lo:[1,0,0] neg_hi:[1,0,0]
	v_pk_fma_f32 v[58:59], v[50:51], s[10:11], v[56:57]
	v_pk_mul_f32 v[62:63], v[92:93], s[26:27]
	v_mov_b32_e32 v52, v38
	v_mov_b32_e32 v53, v40
	s_mov_b32 s6, s27
	s_mov_b32 s7, s26
	;; [unrolled: 1-line block ×3, first 2 shown]
	v_mov_b32_e32 v2, v58
	v_pk_fma_f32 v[4:5], v[52:53], s[6:7], v[62:63] neg_lo:[1,0,0] neg_hi:[1,0,0]
	v_pk_fma_f32 v[64:65], v[52:53], s[6:7], v[62:63]
	v_mov_b32_e32 v6, v29
	v_mov_b32_e32 v7, v27
	s_mov_b32 s41, 0x3df6dbef
	v_pk_add_f32 v[22:23], v[12:13], v[18:19]
	v_pk_add_f32 v[24:25], v[12:13], v[18:19] neg_lo:[0,1] neg_hi:[0,1]
	v_pk_add_f32 v[2:3], v[10:11], v[2:3]
	v_mov_b32_e32 v4, v64
	v_pk_mul_f32 v[68:69], v[6:7], s[40:41]
	v_mov_b32_e32 v54, v26
	v_mov_b32_e32 v55, v28
	s_mov_b32 s20, s41
	s_mov_b32 s21, s40
	;; [unrolled: 1-line block ×3, first 2 shown]
	v_pk_add_f32 v[12:13], v[8:9], v[14:15]
	v_pk_add_f32 v[14:15], v[8:9], v[14:15] neg_lo:[0,1] neg_hi:[0,1]
	v_pk_add_f32 v[2:3], v[4:5], v[2:3]
	v_pk_fma_f32 v[4:5], v[54:55], s[20:21], v[68:69] neg_lo:[1,0,0] neg_hi:[1,0,0]
	v_pk_fma_f32 v[70:71], v[54:55], s[20:21], v[68:69]
	v_mov_b32_e32 v8, v25
	v_mov_b32_e32 v9, v23
	s_mov_b32 s5, 0xbeb58ec6
	v_mov_b32_e32 v4, v70
	v_mov_b32_e32 v60, v22
	v_mov_b32_e32 v61, v24
	s_mov_b32 s14, s5
	s_mov_b32 s15, s4
	v_pk_mul_f32 v[74:75], v[8:9], s[4:5]
	s_mov_b32 s8, 0xbf29c268
	v_pk_add_f32 v[18:19], v[30:31], v[20:21]
	v_pk_add_f32 v[20:21], v[30:31], v[20:21] neg_lo:[0,1] neg_hi:[0,1]
	v_pk_add_f32 v[2:3], v[4:5], v[2:3]
	v_pk_fma_f32 v[4:5], v[60:61], s[14:15], v[74:75] neg_lo:[1,0,0] neg_hi:[1,0,0]
	v_pk_fma_f32 v[76:77], v[60:61], s[14:15], v[74:75]
	v_mov_b32_e32 v88, v15
	v_mov_b32_e32 v89, v13
	s_mov_b32 s9, 0xbf3f9e67
	s_mov_b32 s22, 0xbe750f2a
	v_mov_b32_e32 v4, v76
	v_mov_b32_e32 v66, v12
	;; [unrolled: 1-line block ×3, first 2 shown]
	s_mov_b32 s24, s9
	s_mov_b32 s25, s8
	v_pk_mul_f32 v[78:79], v[88:89], s[8:9]
	v_mov_b32_e32 v90, v21
	v_mov_b32_e32 v91, v19
	s_mov_b32 s23, 0xbf788fa5
	v_pk_add_f32 v[2:3], v[4:5], v[2:3]
	v_pk_fma_f32 v[4:5], v[66:67], s[24:25], v[78:79] neg_lo:[1,0,0] neg_hi:[1,0,0]
	v_pk_fma_f32 v[80:81], v[66:67], s[24:25], v[78:79]
	v_mov_b32_e32 v72, v18
	v_mov_b32_e32 v73, v20
	s_mov_b32 s30, s23
	s_mov_b32 s31, s22
	v_pk_mul_f32 v[84:85], v[90:91], s[22:23]
	v_mov_b32_e32 v4, v80
	v_pk_fma_f32 v[30:31], v[72:73], s[30:31], v[84:85] neg_lo:[1,0,0] neg_hi:[1,0,0]
	v_pk_fma_f32 v[86:87], v[72:73], s[30:31], v[84:85]
	v_pk_add_f32 v[4:5], v[4:5], v[2:3]
	v_pk_add_f32 v[2:3], v[34:35], v[32:33]
	v_mov_b32_e32 v30, v86
	v_pk_mul_f32 v[34:35], v[82:83], s[26:27]
	v_pk_add_f32 v[4:5], v[30:31], v[4:5]
	v_pk_fma_f32 v[30:31], v[50:51], s[6:7], v[34:35] neg_lo:[1,0,0] neg_hi:[1,0,0]
	v_pk_fma_f32 v[36:37], v[50:51], s[6:7], v[34:35]
	v_pk_mul_f32 v[94:95], v[92:93], s[4:5]
	v_mov_b32_e32 v30, v36
	v_pk_fma_f32 v[32:33], v[52:53], s[14:15], v[94:95] neg_lo:[1,0,0] neg_hi:[1,0,0]
	v_pk_fma_f32 v[96:97], v[52:53], s[14:15], v[94:95]
	v_pk_add_f32 v[30:31], v[10:11], v[30:31]
	v_mov_b32_e32 v32, v96
	v_pk_mul_f32 v[98:99], v[6:7], s[22:23]
	v_pk_add_f32 v[30:31], v[32:33], v[30:31]
	v_pk_fma_f32 v[32:33], v[54:55], s[30:31], v[98:99] neg_lo:[1,0,0] neg_hi:[1,0,0]
	v_pk_fma_f32 v[100:101], v[54:55], s[30:31], v[98:99]
	s_mov_b32 s52, 0x3f29c268
	s_mov_b32 s53, s9
	v_mov_b32_e32 v32, v100
	s_mov_b32 s54, s9
	s_mov_b32 s55, s52
	v_pk_mul_f32 v[102:103], v[8:9], s[52:53]
	v_pk_add_f32 v[30:31], v[32:33], v[30:31]
	v_pk_fma_f32 v[32:33], v[60:61], s[54:55], v[102:103] neg_lo:[1,0,0] neg_hi:[1,0,0]
	v_pk_fma_f32 v[104:105], v[60:61], s[54:55], v[102:103]
	s_mov_b32 s28, 0x3f7e222b
	s_mov_b32 s29, s41
	v_mov_b32_e32 v32, v104
	s_mov_b32 s36, s41
	s_mov_b32 s37, s28
	v_pk_mul_f32 v[106:107], v[88:89], s[28:29]
	v_pk_add_f32 v[30:31], v[32:33], v[30:31]
	v_pk_fma_f32 v[32:33], v[66:67], s[36:37], v[106:107] neg_lo:[1,0,0] neg_hi:[1,0,0]
	v_pk_fma_f32 v[108:109], v[66:67], s[36:37], v[106:107]
	s_mov_b32 s34, s41
	v_mov_b32_e32 v32, v108
	v_pk_add_f32 v[30:31], v[32:33], v[30:31]
	v_pk_mul_f32 v[32:33], v[44:45], s[40:41] op_sel_hi:[1,0]
	s_mov_b32 s42, s23
	v_pk_fma_f32 v[110:111], v[42:43], s[34:35], v[32:33] op_sel:[0,0,1] op_sel_hi:[1,0,0] neg_lo:[0,0,1] neg_hi:[0,0,1]
	v_pk_fma_f32 v[112:113], v[42:43], s[34:35], v[32:33] op_sel:[0,0,1] op_sel_hi:[1,0,0]
	v_pk_mul_f32 v[114:115], v[40:41], s[22:23] op_sel_hi:[1,0]
	v_mov_b32_e32 v32, v112
	v_mov_b32_e32 v33, v111
	v_pk_fma_f32 v[116:117], v[38:39], s[42:43], v[114:115] op_sel:[0,0,1] op_sel_hi:[1,0,0] neg_lo:[0,0,1] neg_hi:[0,0,1]
	v_pk_fma_f32 v[114:115], v[38:39], s[42:43], v[114:115] op_sel:[0,0,1] op_sel_hi:[1,0,0]
	v_pk_add_f32 v[32:33], v[10:11], v[32:33]
	v_mov_b32_e32 v118, v114
	v_mov_b32_e32 v119, v117
	s_mov_b32 s2, 0x3f6f5d39
	v_pk_add_f32 v[32:33], v[118:119], v[32:33]
	s_mov_b32 s38, s5
	v_pk_mul_f32 v[118:119], v[28:29], s[2:3] op_sel_hi:[1,0]
	s_mov_b32 s2, 0x3eedf032
	v_pk_fma_f32 v[120:121], v[26:27], s[38:39], v[118:119] op_sel:[0,0,1] op_sel_hi:[1,0,0] neg_lo:[0,0,1] neg_hi:[0,0,1]
	v_pk_fma_f32 v[118:119], v[26:27], s[38:39], v[118:119] op_sel:[0,0,1] op_sel_hi:[1,0,0]
	v_mov_b32_e32 v123, v121
	v_mov_b32_e32 v122, v118
	v_pk_add_f32 v[32:33], v[122:123], v[32:33]
	s_mov_b32 s46, s3
	v_pk_mul_f32 v[122:123], v[24:25], s[2:3] op_sel_hi:[1,0]
	v_pk_fma_f32 v[34:35], v[50:51], s[6:7], v[34:35] neg_lo:[0,0,1] neg_hi:[0,0,1]
	v_pk_fma_f32 v[124:125], v[22:23], s[46:47], v[122:123] op_sel:[0,0,1] op_sel_hi:[1,0,0] neg_lo:[0,0,1] neg_hi:[0,0,1]
	v_pk_fma_f32 v[122:123], v[22:23], s[46:47], v[122:123] op_sel:[0,0,1] op_sel_hi:[1,0,0]
	v_mov_b32_e32 v127, v125
	v_mov_b32_e32 v126, v122
	v_mov_b32_e32 v35, v37
	v_pk_fma_f32 v[36:37], v[52:53], s[14:15], v[94:95] neg_lo:[0,0,1] neg_hi:[0,0,1]
	v_pk_add_f32 v[32:33], v[126:127], v[32:33]
	s_mov_b32 s44, s27
	v_pk_mul_f32 v[126:127], v[14:15], s[26:27] op_sel_hi:[1,0]
	v_mov_b32_e32 v37, v97
	v_pk_add_f32 v[34:35], v[10:11], v[34:35]
	v_pk_fma_f32 v[128:129], v[12:13], s[44:45], v[126:127] op_sel:[0,0,1] op_sel_hi:[1,0,0] neg_lo:[0,0,1] neg_hi:[0,0,1]
	v_pk_fma_f32 v[126:127], v[12:13], s[44:45], v[126:127] op_sel:[0,0,1] op_sel_hi:[1,0,0]
	v_pk_add_f32 v[34:35], v[36:37], v[34:35]
	v_pk_fma_f32 v[36:37], v[54:55], s[30:31], v[98:99] neg_lo:[0,0,1] neg_hi:[0,0,1]
	v_mov_b32_e32 v130, v126
	v_mov_b32_e32 v131, v129
	;; [unrolled: 1-line block ×3, first 2 shown]
	v_pk_add_f32 v[32:33], v[130:131], v[32:33]
	s_mov_b32 s50, s3
	s_mov_b32 s51, s2
	v_pk_mul_f32 v[130:131], v[90:91], s[2:3]
	v_pk_add_f32 v[34:35], v[36:37], v[34:35]
	v_pk_fma_f32 v[36:37], v[60:61], s[54:55], v[102:103] neg_lo:[0,0,1] neg_hi:[0,0,1]
	v_mov_b32_e32 v111, v113
	v_pk_fma_f32 v[132:133], v[72:73], s[50:51], v[130:131] neg_lo:[1,0,0] neg_hi:[1,0,0]
	v_pk_fma_f32 v[134:135], v[72:73], s[50:51], v[130:131]
	v_mov_b32_e32 v37, v105
	v_mov_b32_e32 v117, v115
	v_pk_add_f32 v[94:95], v[10:11], v[110:111]
	v_mov_b32_e32 v132, v134
	v_pk_add_f32 v[34:35], v[36:37], v[34:35]
	v_pk_fma_f32 v[36:37], v[66:67], s[36:37], v[106:107] neg_lo:[0,0,1] neg_hi:[0,0,1]
	v_pk_add_f32 v[94:95], v[116:117], v[94:95]
	v_mov_b32_e32 v121, v119
	v_pk_add_f32 v[30:31], v[132:133], v[30:31]
	s_mov_b32 s48, s9
	v_pk_mul_f32 v[132:133], v[20:21], s[8:9] op_sel_hi:[1,0]
	v_mov_b32_e32 v37, v109
	v_pk_add_f32 v[94:95], v[120:121], v[94:95]
	v_mov_b32_e32 v125, v123
	v_pk_fma_f32 v[136:137], v[18:19], s[48:49], v[132:133] op_sel:[0,0,1] op_sel_hi:[1,0,0] neg_lo:[0,0,1] neg_hi:[0,0,1]
	v_pk_fma_f32 v[132:133], v[18:19], s[48:49], v[132:133] op_sel:[0,0,1] op_sel_hi:[1,0,0]
	v_pk_add_f32 v[34:35], v[36:37], v[34:35]
	v_pk_fma_f32 v[36:37], v[72:73], s[50:51], v[130:131] neg_lo:[0,0,1] neg_hi:[0,0,1]
	v_pk_add_f32 v[94:95], v[124:125], v[94:95]
	v_mov_b32_e32 v129, v127
	v_mov_b32_e32 v139, v137
	;; [unrolled: 1-line block ×3, first 2 shown]
	v_pk_add_f32 v[94:95], v[128:129], v[94:95]
	v_mov_b32_e32 v137, v133
	v_pk_mul_f32 v[96:97], v[44:45], s[4:5] op_sel_hi:[1,0]
	v_pk_add_f32 v[36:37], v[36:37], v[34:35]
	v_pk_add_f32 v[34:35], v[136:137], v[94:95]
	v_pk_fma_f32 v[94:95], v[42:43], s[38:39], v[96:97] op_sel:[0,0,1] op_sel_hi:[1,0,0] neg_lo:[0,0,1] neg_hi:[0,0,1]
	v_pk_fma_f32 v[98:99], v[42:43], s[38:39], v[96:97] op_sel:[0,0,1] op_sel_hi:[1,0,0]
	v_pk_mul_f32 v[100:101], v[40:41], s[52:53] op_sel_hi:[1,0]
	v_mov_b32_e32 v98, v94
	v_pk_fma_f32 v[102:103], v[38:39], s[48:49], v[100:101] op_sel:[0,0,1] op_sel_hi:[1,0,0] neg_lo:[0,0,1] neg_hi:[0,0,1]
	v_pk_fma_f32 v[104:105], v[38:39], s[48:49], v[100:101] op_sel:[0,0,1] op_sel_hi:[1,0,0]
	v_pk_add_f32 v[98:99], v[10:11], v[98:99]
	v_mov_b32_e32 v104, v102
	v_pk_add_f32 v[98:99], v[104:105], v[98:99]
	v_pk_mul_f32 v[104:105], v[28:29], s[2:3] op_sel_hi:[1,0]
	v_pk_mul_f32 v[82:83], v[82:83], s[8:9]
	v_pk_fma_f32 v[106:107], v[26:27], s[46:47], v[104:105] op_sel:[0,0,1] op_sel_hi:[1,0,0] neg_lo:[0,0,1] neg_hi:[0,0,1]
	v_pk_fma_f32 v[108:109], v[26:27], s[46:47], v[104:105] op_sel:[0,0,1] op_sel_hi:[1,0,0]
	v_pk_mul_f32 v[92:93], v[92:93], s[28:29]
	v_mov_b32_e32 v108, v106
	v_pk_add_f32 v[98:99], v[108:109], v[98:99]
	v_pk_mul_f32 v[108:109], v[24:25], s[40:41] op_sel_hi:[1,0]
	s_mov_b32 s40, 0x3e750f2a
	v_pk_fma_f32 v[110:111], v[22:23], s[34:35], v[108:109] op_sel:[0,0,1] op_sel_hi:[1,0,0] neg_lo:[0,0,1] neg_hi:[0,0,1]
	v_pk_fma_f32 v[112:113], v[22:23], s[34:35], v[108:109] op_sel:[0,0,1] op_sel_hi:[1,0,0]
	v_pk_fma_f32 v[118:119], v[50:51], s[24:25], v[82:83] neg_lo:[0,0,1] neg_hi:[0,0,1]
	v_mov_b32_e32 v112, v110
	v_pk_add_f32 v[98:99], v[112:113], v[98:99]
	v_pk_mul_f32 v[112:113], v[14:15], s[40:41] op_sel_hi:[1,0]
	v_pk_fma_f32 v[120:121], v[52:53], s[36:37], v[92:93]
	v_pk_fma_f32 v[114:115], v[12:13], s[42:43], v[112:113] op_sel:[0,0,1] op_sel_hi:[1,0,0] neg_lo:[0,0,1] neg_hi:[0,0,1]
	v_pk_fma_f32 v[116:117], v[12:13], s[42:43], v[112:113] op_sel:[0,0,1] op_sel_hi:[1,0,0]
	v_pk_fma_f32 v[122:123], v[52:53], s[36:37], v[92:93] neg_lo:[0,0,1] neg_hi:[0,0,1]
	v_mov_b32_e32 v116, v114
	v_pk_add_f32 v[98:99], v[116:117], v[98:99]
	v_pk_fma_f32 v[116:117], v[50:51], s[24:25], v[82:83]
	v_mov_b32_e32 v123, v121
	v_mov_b32_e32 v119, v117
	v_pk_add_f32 v[118:119], v[10:11], v[118:119]
	v_pk_fma_f32 v[56:57], v[50:51], s[10:11], v[56:57] neg_lo:[0,0,1] neg_hi:[0,0,1]
	v_pk_fma_f32 v[50:51], v[50:51], s[24:25], v[82:83] neg_lo:[1,0,0] neg_hi:[1,0,0]
	v_pk_add_f32 v[118:119], v[122:123], v[118:119]
	v_pk_mul_f32 v[122:123], v[6:7], s[26:27]
	v_mov_b32_e32 v57, v59
	v_pk_fma_f32 v[58:59], v[52:53], s[6:7], v[62:63] neg_lo:[0,0,1] neg_hi:[0,0,1]
	v_mov_b32_e32 v50, v116
	v_pk_fma_f32 v[52:53], v[52:53], s[36:37], v[92:93] neg_lo:[1,0,0] neg_hi:[1,0,0]
	v_pk_fma_f32 v[124:125], v[54:55], s[6:7], v[122:123]
	v_pk_fma_f32 v[6:7], v[54:55], s[6:7], v[122:123] neg_lo:[0,0,1] neg_hi:[0,0,1]
	v_mov_b32_e32 v59, v65
	v_pk_add_f32 v[56:57], v[10:11], v[56:57]
	v_mov_b32_e32 v52, v120
	v_pk_add_f32 v[50:51], v[10:11], v[50:51]
	v_pk_mul_f32 v[44:45], v[44:45], s[22:23] op_sel_hi:[1,0]
	v_mov_b32_e32 v7, v125
	s_mov_b32 s41, s23
	v_pk_add_f32 v[56:57], v[58:59], v[56:57]
	v_pk_fma_f32 v[58:59], v[54:55], s[20:21], v[68:69] neg_lo:[0,0,1] neg_hi:[0,0,1]
	v_pk_mul_f32 v[62:63], v[42:43], s[38:39] op_sel_hi:[1,0]
	v_pk_add_f32 v[50:51], v[52:53], v[50:51]
	v_pk_fma_f32 v[52:53], v[54:55], s[6:7], v[122:123] neg_lo:[1,0,0] neg_hi:[1,0,0]
	v_pk_fma_f32 v[54:55], v[42:43], s[42:43], v[44:45] op_sel:[0,0,1] op_sel_hi:[1,0,0]
	v_pk_fma_f32 v[42:43], v[42:43], s[42:43], v[44:45] op_sel:[0,0,1] op_sel_hi:[1,0,0] neg_lo:[0,0,1] neg_hi:[0,0,1]
	v_pk_mul_f32 v[40:41], v[40:41], s[2:3] op_sel_hi:[1,0]
	v_pk_add_f32 v[6:7], v[6:7], v[118:119]
	v_pk_mul_f32 v[118:119], v[8:9], s[40:41]
	s_mov_b32 s26, s23
	s_mov_b32 s27, s40
	v_mov_b32_e32 v59, v71
	v_pk_mul_f32 v[64:65], v[38:39], s[48:49] op_sel_hi:[1,0]
	v_mov_b32_e32 v52, v124
	v_pk_fma_f32 v[44:45], v[38:39], s[46:47], v[40:41] op_sel:[0,0,1] op_sel_hi:[1,0,0]
	v_pk_fma_f32 v[38:39], v[38:39], s[46:47], v[40:41] op_sel:[0,0,1] op_sel_hi:[1,0,0] neg_lo:[0,0,1] neg_hi:[0,0,1]
	v_mov_b32_e32 v40, v42
	v_mov_b32_e32 v41, v55
	v_pk_fma_f32 v[126:127], v[60:61], s[26:27], v[118:119]
	v_pk_fma_f32 v[8:9], v[60:61], s[26:27], v[118:119] neg_lo:[0,0,1] neg_hi:[0,0,1]
	v_pk_add_f32 v[56:57], v[58:59], v[56:57]
	v_pk_fma_f32 v[58:59], v[60:61], s[14:15], v[74:75] neg_lo:[0,0,1] neg_hi:[0,0,1]
	v_mov_b32_e32 v96, v101
	v_mov_b32_e32 v65, v62
	v_pk_add_f32 v[50:51], v[52:53], v[50:51]
	v_pk_fma_f32 v[52:53], v[60:61], s[26:27], v[118:119] neg_lo:[1,0,0] neg_hi:[1,0,0]
	v_pk_add_f32 v[40:41], v[10:11], v[40:41]
	v_mov_b32_e32 v60, v38
	v_mov_b32_e32 v61, v45
	v_pk_mul_f32 v[28:29], v[28:29], s[8:9] op_sel_hi:[1,0]
	s_mov_b32 s40, 0x3f52af12
	v_pk_add_f32 v[62:63], v[96:97], v[64:65]
	v_pk_mul_f32 v[64:65], v[26:27], s[46:47] op_sel_hi:[1,0]
	v_pk_add_f32 v[40:41], v[60:61], v[40:41]
	v_pk_fma_f32 v[60:61], v[26:27], s[48:49], v[28:29] op_sel:[0,0,1] op_sel_hi:[1,0,0]
	v_pk_fma_f32 v[26:27], v[26:27], s[48:49], v[28:29] op_sel:[0,0,1] op_sel_hi:[1,0,0] neg_lo:[0,0,1] neg_hi:[0,0,1]
	v_mov_b32_e32 v29, v61
	v_mov_b32_e32 v28, v26
	v_pk_mul_f32 v[24:25], v[24:25], s[40:41] op_sel_hi:[1,0]
	v_pk_mul_f32 v[68:69], v[22:23], s[34:35] op_sel_hi:[1,0]
	v_pk_add_f32 v[28:29], v[28:29], v[40:41]
	v_pk_fma_f32 v[40:41], v[22:23], s[44:45], v[24:25] op_sel:[0,0,1] op_sel_hi:[1,0,0]
	v_pk_fma_f32 v[22:23], v[22:23], s[44:45], v[24:25] op_sel:[0,0,1] op_sel_hi:[1,0,0] neg_lo:[0,0,1] neg_hi:[0,0,1]
	v_mov_b32_e32 v9, v127
	v_pk_mul_f32 v[88:89], v[88:89], s[2:3]
	v_mov_b32_e32 v59, v77
	v_mov_b32_e32 v52, v126
	;; [unrolled: 1-line block ×4, first 2 shown]
	v_pk_mul_f32 v[14:15], v[14:15], s[4:5] op_sel_hi:[1,0]
	v_pk_add_f32 v[6:7], v[8:9], v[6:7]
	v_pk_fma_f32 v[128:129], v[66:67], s[50:51], v[88:89]
	v_pk_fma_f32 v[8:9], v[66:67], s[50:51], v[88:89] neg_lo:[0,0,1] neg_hi:[0,0,1]
	v_pk_add_f32 v[56:57], v[58:59], v[56:57]
	v_pk_fma_f32 v[58:59], v[66:67], s[24:25], v[78:79] neg_lo:[0,0,1] neg_hi:[0,0,1]
	v_mov_b32_e32 v104, v109
	v_mov_b32_e32 v69, v64
	v_pk_add_f32 v[50:51], v[52:53], v[50:51]
	v_pk_fma_f32 v[52:53], v[66:67], s[50:51], v[88:89] neg_lo:[1,0,0] neg_hi:[1,0,0]
	v_pk_add_f32 v[24:25], v[24:25], v[28:29]
	v_pk_fma_f32 v[28:29], v[12:13], s[38:39], v[14:15] op_sel:[0,0,1] op_sel_hi:[1,0,0]
	v_pk_fma_f32 v[66:67], v[12:13], s[38:39], v[14:15] op_sel:[0,0,1] op_sel_hi:[1,0,0] neg_lo:[0,0,1] neg_hi:[0,0,1]
	v_pk_add_f32 v[64:65], v[104:105], v[68:69]
	v_pk_mul_f32 v[68:69], v[12:13], s[42:43] op_sel_hi:[1,0]
	v_mov_b32_e32 v12, v66
	v_mov_b32_e32 v13, v29
	;; [unrolled: 1-line block ×5, first 2 shown]
	v_pk_mul_f32 v[130:131], v[20:21], s[40:41] op_sel_hi:[1,0]
	v_pk_mul_f32 v[70:71], v[18:19], s[44:45] op_sel_hi:[1,0]
	v_pk_add_f32 v[24:25], v[12:13], v[24:25]
	v_mov_b32_e32 v45, v39
	v_pk_add_f32 v[12:13], v[10:11], v[54:55]
	v_pk_add_f32 v[10:11], v[10:11], v[94:95]
	v_mov_b32_e32 v63, v103
	v_mov_b32_e32 v138, v132
	v_pk_add_f32 v[6:7], v[8:9], v[6:7]
	v_pk_fma_f32 v[132:133], v[18:19], s[44:45], v[130:131] op_sel:[0,0,1] op_sel_hi:[1,0,0] neg_lo:[0,0,1] neg_hi:[0,0,1]
	v_pk_fma_f32 v[8:9], v[18:19], s[44:45], v[130:131] op_sel:[0,0,1] op_sel_hi:[1,0,0]
	v_mov_b32_e32 v112, v131
	v_mov_b32_e32 v71, v68
	v_pk_add_f32 v[12:13], v[44:45], v[12:13]
	v_mov_b32_e32 v61, v27
	v_pk_add_f32 v[10:11], v[62:63], v[10:11]
	v_mov_b32_e32 v106, v65
	v_mov_b32_e32 v8, v132
	v_pk_mul_f32 v[90:91], v[90:91], s[4:5]
	v_mov_b32_e32 v59, v81
	v_pk_add_f32 v[68:69], v[112:113], v[70:71]
	v_mov_b32_e32 v52, v128
	v_pk_add_f32 v[12:13], v[60:61], v[12:13]
	v_mov_b32_e32 v41, v23
	v_pk_mul_f32 v[20:21], v[20:21], s[28:29] op_sel_hi:[1,0]
	v_pk_add_f32 v[10:11], v[106:107], v[10:11]
	v_mov_b32_e32 v65, v111
	v_pk_add_f32 v[8:9], v[8:9], v[98:99]
	v_pk_fma_f32 v[98:99], v[72:73], s[14:15], v[90:91]
	v_pk_fma_f32 v[134:135], v[72:73], s[14:15], v[90:91] neg_lo:[0,0,1] neg_hi:[0,0,1]
	v_pk_add_f32 v[56:57], v[58:59], v[56:57]
	v_pk_fma_f32 v[58:59], v[72:73], s[30:31], v[84:85] neg_lo:[0,0,1] neg_hi:[0,0,1]
	v_pk_add_f32 v[50:51], v[52:53], v[50:51]
	v_pk_fma_f32 v[52:53], v[72:73], s[14:15], v[90:91] neg_lo:[1,0,0] neg_hi:[1,0,0]
	v_pk_add_f32 v[22:23], v[40:41], v[12:13]
	v_mov_b32_e32 v29, v67
	v_pk_fma_f32 v[26:27], v[18:19], s[34:35], v[20:21] op_sel:[0,0,1] op_sel_hi:[1,0,0] neg_lo:[0,0,1] neg_hi:[0,0,1]
	v_pk_fma_f32 v[18:19], v[18:19], s[34:35], v[20:21] op_sel:[0,0,1] op_sel_hi:[1,0,0]
	s_movk_i32 s2, 0x3a8
	v_pk_add_f32 v[10:11], v[64:65], v[10:11]
	v_mov_b32_e32 v114, v69
	v_mov_b32_e32 v135, v99
	;; [unrolled: 1-line block ×4, first 2 shown]
	v_pk_add_f32 v[22:23], v[28:29], v[22:23]
	v_mov_b32_e32 v20, v18
	v_mov_b32_e32 v21, v27
	;; [unrolled: 1-line block ×3, first 2 shown]
	v_mad_u32_u24 v17, v1, s2, 0
	v_pk_add_f32 v[10:11], v[114:115], v[10:11]
	v_mov_b32_e32 v69, v133
	s_movk_i32 s6, 0x75
	v_pk_add_f32 v[32:33], v[138:139], v[32:33]
	v_pk_add_f32 v[6:7], v[134:135], v[6:7]
	;; [unrolled: 1-line block ×6, first 2 shown]
	v_lshl_add_u32 v18, v16, 3, v17
	v_pk_add_f32 v[10:11], v[68:69], v[10:11]
	v_cmp_gt_u32_e64 s[2:3], s6, v0
	ds_write2_b64 v18, v[2:3], v[4:5] offset1:9
	ds_write2_b64 v18, v[30:31], v[32:33] offset0:18 offset1:27
	ds_write2_b64 v18, v[10:11], v[12:13] offset0:36 offset1:45
	;; [unrolled: 1-line block ×5, first 2 shown]
	ds_write_b64 v18, v[14:15] offset:864
	s_waitcnt lgkmcnt(0)
	s_barrier
	s_waitcnt lgkmcnt(0)
                                        ; implicit-def: $vgpr44
	s_and_saveexec_b64 s[4:5], s[2:3]
	s_cbranch_execz .LBB0_42
; %bb.41:
	v_mul_i32_i24_e32 v2, 0xfffffca0, v1
	v_lshlrev_b32_e32 v3, 3, v16
	v_add3_u32 v18, v17, v2, v3
	v_add_u32_e32 v6, 0x400, v18
	ds_read2_b64 v[30:33], v6 offset0:106 offset1:223
	v_add_u32_e32 v6, 0xc00, v18
	ds_read2_b64 v[10:13], v6 offset0:84 offset1:201
	v_add_u32_e32 v6, 0x1400, v18
	v_add_u32_e32 v14, 0x2400, v18
	ds_read2_b64 v[2:5], v18 offset1:117
	ds_read2_b64 v[38:41], v6 offset0:62 offset1:179
	v_add_u32_e32 v6, 0x1c00, v18
	ds_read2_b64 v[34:37], v14 offset0:18 offset1:135
	v_add_u32_e32 v14, 0x2800, v18
	v_add_u32_e32 v18, 0x3000, v18
	ds_read2_b64 v[6:9], v6 offset0:40 offset1:157
	ds_read2_b64 v[14:17], v14 offset0:124 offset1:241
	;; [unrolled: 1-line block ×3, first 2 shown]
.LBB0_42:
	s_or_b64 exec, exec, s[4:5]
	s_movk_i32 s2, 0x74
	v_cmp_lt_u32_e64 s[2:3], s2, v0
	v_cmp_gt_u32_e64 s[4:5], s6, v0
	v_cndmask_b32_e64 v19, 0, 1, s[0:1]
	s_or_b64 vcc, s[2:3], vcc
	v_cndmask_b32_e64 v18, 0, 1, s[4:5]
	v_cndmask_b32_e32 v18, v19, v18, vcc
	v_and_b32_e32 v18, 1, v18
	v_cmp_eq_u32_e32 vcc, 1, v18
	s_and_saveexec_b64 s[0:1], vcc
	s_cbranch_execz .LBB0_44
; %bb.43:
	s_mov_b32 s0, 0x13b13b14
	v_mul_hi_u32 v18, v1, s0
	v_mul_u32_u24_e32 v18, 13, v18
	v_sub_u32_e32 v49, v1, v18
	v_mul_u32_u24_e32 v1, 15, v49
	v_lshlrev_b32_e32 v1, 3, v1
	global_load_dwordx4 v[66:69], v1, s[18:19]
	global_load_dwordx4 v[72:75], v1, s[18:19] offset:64
	global_load_dwordx4 v[76:79], v1, s[18:19] offset:32
	;; [unrolled: 1-line block ×6, first 2 shown]
	global_load_dwordx2 v[84:85], v1, s[18:19] offset:112
	s_mov_b32 s0, 0x2302303
	s_waitcnt lgkmcnt(7)
	v_mov_b32_e32 v56, v33
	v_mul_hi_u32 v0, v0, s0
	s_waitcnt lgkmcnt(3)
	v_mov_b32_e32 v52, v35
	v_mov_b32_e32 v64, v5
	v_mul_u32_u24_e32 v0, 0xd0, v0
	s_waitcnt lgkmcnt(0)
	v_mov_b32_e32 v60, v43
	v_mov_b32_e32 v61, v42
	;; [unrolled: 1-line block ×5, first 2 shown]
	v_or_b32_e32 v47, v0, v49
	v_mov_b32_e32 v88, v45
	v_mov_b32_e32 v54, v39
	;; [unrolled: 1-line block ×6, first 2 shown]
	s_add_i32 s0, 0, 0x3a80
	s_mov_b32 s2, 0x3f3504f3
	s_waitcnt vmcnt(7)
	v_mov_b32_e32 v90, v69
	s_waitcnt vmcnt(6)
	v_mov_b32_e32 v92, v75
	v_mov_b32_e32 v93, v74
	;; [unrolled: 1-line block ×3, first 2 shown]
	s_waitcnt vmcnt(3)
	v_pk_mul_f32 v[56:57], v[56:57], v[22:23] op_sel:[0,1] op_sel_hi:[1,0]
	v_mov_b32_e32 v0, v83
	v_pk_mul_f32 v[98:99], v[4:5], v[66:67] op_sel:[0,1] op_sel_hi:[1,0]
	v_pk_mul_f32 v[100:101], v[8:9], v[72:73] op_sel:[0,1] op_sel_hi:[1,0]
	;; [unrolled: 1-line block ×3, first 2 shown]
	s_waitcnt vmcnt(2)
	v_pk_mul_f32 v[104:105], v[36:37], v[18:19] op_sel:[0,1] op_sel_hi:[1,0]
	s_waitcnt vmcnt(1)
	v_pk_mul_f32 v[106:107], v[40:41], v[26:27] op_sel:[0,1] op_sel_hi:[1,0]
	v_pk_mul_f32 v[64:65], v[64:65], v[66:67] op_sel:[0,1] op_sel_hi:[1,0]
	v_pk_mul_f32 v[116:117], v[52:53], v[92:93]
	v_pk_fma_f32 v[52:53], v[32:33], v[22:23], v[56:57]
	v_mov_b32_e32 v94, v79
	v_mov_b32_e32 v95, v78
	v_pk_mul_f32 v[58:59], v[58:59], v[18:19] op_sel:[0,1] op_sel_hi:[1,0]
	v_pk_mul_f32 v[62:63], v[62:63], v[26:27] op_sel:[0,1] op_sel_hi:[1,0]
	v_pk_mul_f32 v[112:113], v[30:31], v[90:91]
	v_pk_mul_f32 v[50:51], v[50:51], v[90:91]
	;; [unrolled: 1-line block ×3, first 2 shown]
	v_mov_b32_e32 v45, v98
	v_mov_b32_e32 v99, v102
	;; [unrolled: 1-line block ×4, first 2 shown]
	v_pk_fma_f32 v[0:1], v[4:5], v[66:67], v[64:65]
	v_pk_mul_f32 v[118:119], v[54:55], v[94:95]
	v_pk_fma_f32 v[58:59], v[36:37], v[18:19], v[58:59]
	v_pk_fma_f32 v[54:55], v[40:41], v[26:27], v[62:63]
	v_mov_b32_e32 v1, v112
	v_pk_fma_f32 v[50:51], v[30:31], v[68:69], v[50:51]
	v_pk_fma_f32 v[68:69], v[4:5], v[66:67], v[44:45] op_sel:[0,1,0] op_sel_hi:[1,0,1] neg_lo:[0,0,1] neg_hi:[0,0,1]
	v_pk_fma_f32 v[62:63], v[32:33], v[22:23], v[98:99] op_sel:[0,1,0] op_sel_hi:[1,0,1] neg_lo:[0,0,1] neg_hi:[0,0,1]
	v_pk_fma_f32 v[32:33], v[36:37], v[18:19], v[100:101] op_sel:[0,1,0] op_sel_hi:[1,0,1] neg_lo:[0,0,1] neg_hi:[0,0,1]
	v_pk_fma_f32 v[18:19], v[40:41], v[26:27], v[52:53] op_sel:[0,1,0] op_sel_hi:[1,0,1] neg_lo:[0,0,1] neg_hi:[0,0,1]
	v_mov_b32_e32 v4, v13
	v_pk_mul_f32 v[26:27], v[12:13], v[76:77] op_sel:[0,1] op_sel_hi:[1,0]
	v_pk_fma_f32 v[36:37], v[30:31], v[90:91], v[0:1] neg_lo:[0,0,1] neg_hi:[0,0,1]
	v_pk_mul_f32 v[4:5], v[4:5], v[76:77] op_sel:[0,1] op_sel_hi:[1,0]
	v_mov_b32_e32 v1, v26
	v_pk_fma_f32 v[4:5], v[12:13], v[76:77], v[4:5]
	v_pk_fma_f32 v[12:13], v[12:13], v[76:77], v[0:1] op_sel:[0,1,0] op_sel_hi:[1,0,1] neg_lo:[0,0,1] neg_hi:[0,0,1]
	v_pk_mul_f32 v[96:97], v[60:61], v[82:83]
	v_mov_b32_e32 v12, v81
	v_mov_b32_e32 v17, v96
	v_pk_mul_f32 v[26:27], v[86:87], v[12:13]
	v_pk_fma_f32 v[60:61], v[60:61], v[82:83], v[16:17] neg_lo:[1,0,0] neg_hi:[1,0,0]
	v_pk_fma_f32 v[16:17], v[16:17], v[80:81], v[26:27]
	v_pk_mul_f32 v[26:27], v[86:87], v[80:81]
	s_waitcnt vmcnt(0)
	v_mov_b32_e32 v108, v85
	v_mov_b32_e32 v1, v26
	v_pk_fma_f32 v[26:27], v[86:87], v[80:81], v[0:1] neg_lo:[1,0,0] neg_hi:[1,0,0]
	v_add_u32_e32 v1, 0xc3, v49
	v_mul_lo_u32 v1, v1, v48
	v_pk_mul_f32 v[70:71], v[70:71], v[72:73] op_sel:[0,1] op_sel_hi:[1,0]
	v_mov_b32_e32 v97, v100
	v_pk_mul_f32 v[102:103], v[88:89], v[108:109]
	v_lshrrev_b32_e32 v5, 7, v1
	v_pk_mul_f32 v[120:121], v[38:39], v[94:95]
	v_pk_fma_f32 v[64:65], v[8:9], v[72:73], v[70:71]
	v_pk_fma_f32 v[66:67], v[8:9], v[72:73], v[96:97] op_sel:[0,1,0] op_sel_hi:[1,0,1] neg_lo:[0,0,1] neg_hi:[0,0,1]
	v_pk_fma_f32 v[8:9], v[44:45], v[84:85], v[102:103]
	v_and_b32_e32 v5, 0xf8, v5
	v_lshrrev_b32_e32 v12, 2, v1
	v_mov_b32_e32 v51, v120
	v_add_u32_e32 v5, s0, v5
	v_and_b32_e32 v9, 31, v1
	v_and_b32_e32 v12, 0xf8, v12
	v_pk_fma_f32 v[56:57], v[38:39], v[78:79], v[118:119]
	v_pk_fma_f32 v[30:31], v[38:39], v[94:95], v[50:51] neg_lo:[0,0,1] neg_hi:[0,0,1]
	v_lshl_add_u32 v9, v9, 3, 0
	v_add_u32_e32 v12, s0, v12
	v_mul_lo_u32 v17, v48, -13
	ds_read_b64 v[38:39], v5 offset:512
	ds_read_b64 v[40:41], v9 offset:14976
	;; [unrolled: 1-line block ×3, first 2 shown]
	v_add_u32_e32 v1, v1, v17
	v_lshrrev_b32_e32 v5, 7, v1
	v_and_b32_e32 v5, 0xf8, v5
	v_pk_mul_f32 v[114:115], v[34:35], v[92:93]
	v_add_u32_e32 v5, s0, v5
	v_mov_b32_e32 v59, v114
	ds_read_b64 v[72:73], v5 offset:512
	s_waitcnt lgkmcnt(1)
	v_mul_f32_e32 v5, v41, v45
	v_mul_f32_e32 v9, v40, v45
	v_pk_fma_f32 v[70:71], v[34:35], v[74:75], v[116:117]
	v_pk_fma_f32 v[34:35], v[34:35], v[92:93], v[58:59] neg_lo:[0,0,1] neg_hi:[0,0,1]
	v_fma_f32 v5, v40, v44, -v5
	v_fmac_f32_e32 v9, v41, v44
	v_mul_f32_e32 v12, v9, v39
	v_mul_f32_e32 v34, v5, v39
	v_fma_f32 v32, v38, v5, -v12
	v_fmac_f32_e32 v34, v38, v9
	v_and_b32_e32 v5, 31, v1
	v_lshrrev_b32_e32 v9, 2, v1
	v_lshl_add_u32 v5, v5, 3, 0
	v_and_b32_e32 v9, 0xf8, v9
	v_add_u32_e32 v9, s0, v9
	ds_read_b64 v[38:39], v5 offset:14976
	ds_read_b64 v[40:41], v9 offset:256
	v_add_u32_e32 v1, v1, v17
	v_lshrrev_b32_e32 v12, 7, v1
	v_and_b32_e32 v12, 0xf8, v12
	v_and_b32_e32 v5, 31, v1
	v_add_u32_e32 v12, s0, v12
	v_lshl_add_u32 v5, v5, 3, 0
	s_waitcnt lgkmcnt(0)
	v_mul_f32_e32 v9, v38, v41
	ds_read_b64 v[44:45], v12 offset:512
	ds_read_b64 v[74:75], v5 offset:14976
	v_mul_f32_e32 v5, v39, v41
	v_fmac_f32_e32 v9, v39, v40
	v_fma_f32 v5, v38, v40, -v5
	v_mul_f32_e32 v12, v9, v73
	v_fma_f32 v36, v72, v5, -v12
	v_mul_f32_e32 v60, v5, v73
	v_lshrrev_b32_e32 v5, 2, v1
	v_and_b32_e32 v5, 0xf8, v5
	v_add_u32_e32 v5, s0, v5
	v_add_u32_e32 v1, v1, v17
	v_fmac_f32_e32 v60, v72, v9
	v_lshrrev_b32_e32 v9, 7, v1
	ds_read_b64 v[38:39], v5 offset:256
	v_and_b32_e32 v9, 0xf8, v9
	v_lshrrev_b32_e32 v18, 2, v1
	v_add_u32_e32 v9, s0, v9
	v_and_b32_e32 v12, 31, v1
	v_and_b32_e32 v18, 0xf8, v18
	v_lshl_add_u32 v12, v12, 3, 0
	v_add_u32_e32 v5, s0, v18
	ds_read_b64 v[40:41], v9 offset:512
	ds_read_b64 v[76:77], v12 offset:14976
	;; [unrolled: 1-line block ×3, first 2 shown]
	s_waitcnt lgkmcnt(3)
	v_mul_f32_e32 v5, v75, v39
	v_fma_f32 v5, v74, v38, -v5
	v_mul_f32_e32 v9, v74, v39
	v_fmac_f32_e32 v9, v75, v38
	v_mul_f32_e32 v72, v5, v45
	v_mul_f32_e32 v12, v9, v45
	v_fmac_f32_e32 v72, v44, v9
	s_waitcnt lgkmcnt(0)
	v_mul_f32_e32 v9, v76, v79
	v_fma_f32 v66, v44, v5, -v12
	v_mul_f32_e32 v5, v77, v79
	v_fmac_f32_e32 v9, v77, v78
	v_fma_f32 v5, v76, v78, -v5
	v_mul_f32_e32 v12, v9, v41
	v_add_u32_e32 v1, v1, v17
	v_fma_f32 v62, v40, v5, -v12
	v_mul_f32_e32 v68, v5, v41
	v_lshrrev_b32_e32 v5, 7, v1
	v_and_b32_e32 v5, 0xf8, v5
	v_lshrrev_b32_e32 v12, 2, v1
	v_fmac_f32_e32 v68, v40, v9
	v_add_u32_e32 v5, s0, v5
	v_and_b32_e32 v9, 31, v1
	v_and_b32_e32 v12, 0xf8, v12
	v_lshl_add_u32 v9, v9, 3, 0
	v_add_u32_e32 v12, s0, v12
	ds_read_b64 v[38:39], v5 offset:512
	ds_read_b64 v[40:41], v9 offset:14976
	;; [unrolled: 1-line block ×3, first 2 shown]
	v_add_u32_e32 v1, v1, v17
	v_lshrrev_b32_e32 v5, 7, v1
	v_and_b32_e32 v5, 0xf8, v5
	v_add_u32_e32 v5, s0, v5
	ds_read_b64 v[78:79], v5 offset:512
	s_waitcnt lgkmcnt(1)
	v_mul_f32_e32 v5, v41, v45
	v_mul_f32_e32 v9, v40, v45
	v_fma_f32 v5, v40, v44, -v5
	v_fmac_f32_e32 v9, v41, v44
	v_mul_f32_e32 v12, v9, v39
	v_mul_f32_e32 v74, v5, v39
	v_fma_f32 v73, v38, v5, -v12
	v_fmac_f32_e32 v74, v38, v9
	v_and_b32_e32 v5, 31, v1
	v_lshrrev_b32_e32 v9, 2, v1
	v_lshl_add_u32 v5, v5, 3, 0
	v_and_b32_e32 v9, 0xf8, v9
	v_add_u32_e32 v9, s0, v9
	ds_read_b64 v[38:39], v5 offset:14976
	ds_read_b64 v[40:41], v9 offset:256
	v_add_u32_e32 v1, v1, v17
	v_lshrrev_b32_e32 v12, 7, v1
	v_and_b32_e32 v12, 0xf8, v12
	v_and_b32_e32 v5, 31, v1
	v_add_u32_e32 v12, s0, v12
	v_lshl_add_u32 v5, v5, 3, 0
	s_waitcnt lgkmcnt(0)
	v_mul_f32_e32 v9, v38, v41
	ds_read_b64 v[44:45], v12 offset:512
	ds_read_b64 v[80:81], v5 offset:14976
	v_mul_f32_e32 v5, v39, v41
	v_fmac_f32_e32 v9, v39, v40
	v_fma_f32 v5, v38, v40, -v5
	v_mul_f32_e32 v12, v9, v79
	v_fma_f32 v75, v78, v5, -v12
	v_mul_f32_e32 v76, v5, v79
	v_lshrrev_b32_e32 v5, 2, v1
	v_and_b32_e32 v5, 0xf8, v5
	v_add_u32_e32 v5, s0, v5
	v_add_u32_e32 v1, v1, v17
	v_fmac_f32_e32 v76, v78, v9
	v_lshrrev_b32_e32 v9, 7, v1
	ds_read_b64 v[38:39], v5 offset:256
	v_and_b32_e32 v9, 0xf8, v9
	v_lshrrev_b32_e32 v18, 2, v1
	v_add_u32_e32 v9, s0, v9
	v_and_b32_e32 v12, 31, v1
	v_and_b32_e32 v18, 0xf8, v18
	v_pk_fma_f32 v[42:43], v[42:43], v[82:83], v[122:123]
	v_lshl_add_u32 v12, v12, 3, 0
	v_add_u32_e32 v5, s0, v18
	ds_read_b64 v[40:41], v9 offset:512
	ds_read_b64 v[78:79], v12 offset:14976
	;; [unrolled: 1-line block ×3, first 2 shown]
	v_pk_mul_f32 v[110:111], v[88:89], v[84:85]
	s_waitcnt lgkmcnt(3)
	v_mul_f32_e32 v5, v81, v39
	v_mov_b32_e32 v55, v110
	v_fma_f32 v5, v80, v38, -v5
	v_mul_f32_e32 v9, v80, v39
	v_pk_fma_f32 v[22:23], v[88:89], v[84:85], v[54:55] neg_lo:[1,0,0] neg_hi:[1,0,0]
	v_fmac_f32_e32 v9, v81, v38
	v_mul_f32_e32 v84, v5, v45
	v_mul_f32_e32 v12, v9, v45
	v_fmac_f32_e32 v84, v44, v9
	s_waitcnt lgkmcnt(0)
	v_mul_f32_e32 v9, v78, v83
	v_fma_f32 v77, v44, v5, -v12
	v_mul_f32_e32 v5, v79, v83
	v_fmac_f32_e32 v9, v79, v82
	v_fma_f32 v5, v78, v82, -v5
	v_mul_f32_e32 v12, v9, v41
	v_add_u32_e32 v1, v1, v17
	v_fma_f32 v85, v40, v5, -v12
	v_mul_f32_e32 v86, v5, v41
	v_lshrrev_b32_e32 v5, 7, v1
	v_and_b32_e32 v5, 0xf8, v5
	v_lshrrev_b32_e32 v12, 2, v1
	v_fmac_f32_e32 v86, v40, v9
	v_add_u32_e32 v5, s0, v5
	v_and_b32_e32 v9, 31, v1
	v_and_b32_e32 v12, 0xf8, v12
	v_lshl_add_u32 v9, v9, 3, 0
	v_add_u32_e32 v12, s0, v12
	ds_read_b64 v[38:39], v5 offset:512
	ds_read_b64 v[40:41], v9 offset:14976
	;; [unrolled: 1-line block ×3, first 2 shown]
	v_add_u32_e32 v1, v1, v17
	v_lshrrev_b32_e32 v5, 7, v1
	v_and_b32_e32 v5, 0xf8, v5
	v_add_u32_e32 v5, s0, v5
	ds_read_b64 v[78:79], v5 offset:512
	s_waitcnt lgkmcnt(1)
	v_mul_f32_e32 v5, v41, v45
	v_mul_f32_e32 v9, v40, v45
	v_fma_f32 v5, v40, v44, -v5
	v_fmac_f32_e32 v9, v41, v44
	v_mul_f32_e32 v12, v9, v39
	v_mul_f32_e32 v88, v5, v39
	v_fma_f32 v87, v38, v5, -v12
	v_fmac_f32_e32 v88, v38, v9
	v_and_b32_e32 v5, 31, v1
	v_lshrrev_b32_e32 v9, 2, v1
	v_lshl_add_u32 v5, v5, 3, 0
	v_and_b32_e32 v9, 0xf8, v9
	v_add_u32_e32 v9, s0, v9
	ds_read_b64 v[38:39], v5 offset:14976
	ds_read_b64 v[40:41], v9 offset:256
	v_add_u32_e32 v1, v1, v17
	v_lshrrev_b32_e32 v12, 7, v1
	v_and_b32_e32 v12, 0xf8, v12
	v_and_b32_e32 v5, 31, v1
	v_add_u32_e32 v12, s0, v12
	v_lshl_add_u32 v5, v5, 3, 0
	s_waitcnt lgkmcnt(0)
	v_mul_f32_e32 v9, v38, v41
	ds_read_b64 v[44:45], v12 offset:512
	ds_read_b64 v[80:81], v5 offset:14976
	v_mul_f32_e32 v5, v39, v41
	v_fmac_f32_e32 v9, v39, v40
	v_fma_f32 v5, v38, v40, -v5
	v_mul_f32_e32 v12, v9, v79
	v_fma_f32 v89, v78, v5, -v12
	v_mul_f32_e32 v90, v5, v79
	v_lshrrev_b32_e32 v5, 2, v1
	v_and_b32_e32 v5, 0xf8, v5
	v_add_u32_e32 v5, s0, v5
	v_add_u32_e32 v1, v1, v17
	v_fmac_f32_e32 v90, v78, v9
	v_lshrrev_b32_e32 v9, 7, v1
	ds_read_b64 v[38:39], v5 offset:256
	v_and_b32_e32 v9, 0xf8, v9
	v_lshrrev_b32_e32 v18, 2, v1
	v_add_u32_e32 v9, s0, v9
	v_and_b32_e32 v12, 31, v1
	v_and_b32_e32 v18, 0xf8, v18
	v_lshl_add_u32 v12, v12, 3, 0
	v_add_u32_e32 v5, s0, v18
	ds_read_b64 v[40:41], v9 offset:512
	ds_read_b64 v[78:79], v12 offset:14976
	;; [unrolled: 1-line block ×3, first 2 shown]
	s_waitcnt lgkmcnt(3)
	v_mul_f32_e32 v5, v81, v39
	v_fma_f32 v5, v80, v38, -v5
	v_mul_f32_e32 v9, v80, v39
	v_fmac_f32_e32 v9, v81, v38
	v_mul_f32_e32 v92, v5, v45
	v_mul_f32_e32 v12, v9, v45
	v_fmac_f32_e32 v92, v44, v9
	s_waitcnt lgkmcnt(0)
	v_mul_f32_e32 v9, v78, v83
	v_fma_f32 v91, v44, v5, -v12
	v_mul_f32_e32 v5, v79, v83
	v_fmac_f32_e32 v9, v79, v82
	v_fma_f32 v5, v78, v82, -v5
	v_mul_f32_e32 v12, v9, v41
	v_add_u32_e32 v1, v1, v17
	v_fma_f32 v93, v40, v5, -v12
	v_mul_f32_e32 v94, v5, v41
	v_lshrrev_b32_e32 v5, 7, v1
	v_and_b32_e32 v5, 0xf8, v5
	v_lshrrev_b32_e32 v12, 2, v1
	v_fmac_f32_e32 v94, v40, v9
	v_add_u32_e32 v5, s0, v5
	v_and_b32_e32 v9, 31, v1
	v_and_b32_e32 v12, 0xf8, v12
	v_lshl_add_u32 v9, v9, 3, 0
	v_add_u32_e32 v12, s0, v12
	ds_read_b64 v[38:39], v5 offset:512
	ds_read_b64 v[40:41], v9 offset:14976
	;; [unrolled: 1-line block ×3, first 2 shown]
	v_add_u32_e32 v1, v1, v17
	v_lshrrev_b32_e32 v5, 7, v1
	v_and_b32_e32 v5, 0xf8, v5
	v_add_u32_e32 v5, s0, v5
	ds_read_b64 v[78:79], v5 offset:512
	s_waitcnt lgkmcnt(1)
	v_mul_f32_e32 v5, v41, v45
	v_mul_f32_e32 v9, v40, v45
	v_fma_f32 v5, v40, v44, -v5
	v_fmac_f32_e32 v9, v41, v44
	v_mul_f32_e32 v12, v9, v39
	v_mul_f32_e32 v96, v5, v39
	v_fma_f32 v95, v38, v5, -v12
	v_fmac_f32_e32 v96, v38, v9
	v_and_b32_e32 v5, 31, v1
	v_lshrrev_b32_e32 v9, 2, v1
	v_lshl_add_u32 v5, v5, 3, 0
	v_and_b32_e32 v9, 0xf8, v9
	v_add_u32_e32 v9, s0, v9
	ds_read_b64 v[38:39], v5 offset:14976
	ds_read_b64 v[40:41], v9 offset:256
	v_add_u32_e32 v1, v1, v17
	v_lshrrev_b32_e32 v12, 7, v1
	v_and_b32_e32 v12, 0xf8, v12
	v_and_b32_e32 v5, 31, v1
	v_add_u32_e32 v12, s0, v12
	v_lshl_add_u32 v5, v5, 3, 0
	s_waitcnt lgkmcnt(0)
	v_mul_f32_e32 v9, v38, v41
	v_lshrrev_b32_e32 v1, 2, v1
	ds_read_b64 v[44:45], v12 offset:512
	ds_read_b64 v[80:81], v5 offset:14976
	v_mul_f32_e32 v5, v39, v41
	v_fmac_f32_e32 v9, v39, v40
	v_and_b32_e32 v1, 0xf8, v1
	v_fma_f32 v5, v38, v40, -v5
	v_mul_f32_e32 v12, v9, v79
	v_add_u32_e32 v1, s0, v1
	v_fma_f32 v97, v78, v5, -v12
	v_mul_f32_e32 v98, v5, v79
	v_mul_lo_u32 v5, v49, v48
	ds_read_b64 v[38:39], v1 offset:256
	v_fmac_f32_e32 v98, v78, v9
	v_lshrrev_b32_e32 v9, 7, v5
	v_and_b32_e32 v9, 0xf8, v9
	v_and_b32_e32 v12, 31, v5
	v_lshrrev_b32_e32 v5, 2, v5
	v_add_u32_e32 v9, s0, v9
	v_and_b32_e32 v5, 0xf8, v5
	v_lshl_add_u32 v12, v12, 3, 0
	v_add_u32_e32 v1, s0, v5
	ds_read_b64 v[48:49], v9 offset:512
	ds_read_b64 v[78:79], v12 offset:14976
	;; [unrolled: 1-line block ×3, first 2 shown]
	s_waitcnt lgkmcnt(3)
	v_mul_f32_e32 v1, v80, v38
	v_fma_f32 v1, -v81, v39, v1
	v_pk_mul_f32 v[38:39], v[80:81], v[38:39] op_sel:[1,0] op_sel_hi:[0,1]
	v_add_f32_e32 v5, v38, v39
	v_mul_f32_e32 v9, v5, v45
	v_mul_f32_e32 v22, v1, v45
	v_fma_f32 v18, v44, v1, -v9
	v_fmac_f32_e32 v22, v44, v5
	s_waitcnt lgkmcnt(0)
	v_mul_f32_e32 v1, v78, v82
	v_pk_mul_f32 v[44:45], v[78:79], v[82:83] op_sel:[1,0] op_sel_hi:[0,1]
	v_fma_f32 v1, -v79, v83, v1
	v_add_f32_e32 v5, v44, v45
	v_add_u32_e32 v12, s13, v46
	v_mul_f32_e32 v9, v49, v5
	v_mul_f32_e32 v30, v49, v1
	v_mov_b32_e32 v51, v37
	v_mov_b32_e32 v71, v35
	v_mad_u64_u32 v[38:39], s[0:1], s12, v47, v[12:13]
	v_fma_f32 v26, v48, v1, -v9
	v_fmac_f32_e32 v30, v48, v5
	v_pk_add_f32 v[48:49], v[50:51], v[70:71] neg_lo:[0,1] neg_hi:[0,1]
	v_mov_b32_e32 v70, v29
	v_mov_b32_e32 v71, v28
	v_pk_mul_f32 v[28:29], v[6:7], v[28:29] op_sel_hi:[0,1]
	v_mov_b32_e32 v39, 0
	v_pk_fma_f32 v[78:79], v[6:7], v[70:71], v[28:29] op_sel:[1,0,0]
	v_pk_fma_f32 v[6:7], v[6:7], v[70:71], v[28:29] op_sel:[1,0,0] neg_lo:[0,0,1] neg_hi:[0,0,1]
	v_mov_b32_e32 v70, v25
	v_mov_b32_e32 v71, v24
	v_lshl_add_u64 v[40:41], v[38:39], 3, s[16:17]
	v_mov_b32_e32 v28, v11
	v_mov_b32_e32 v38, v11
	v_pk_mul_f32 v[10:11], v[10:11], v[70:71] op_sel_hi:[0,1]
	v_pk_fma_f32 v[28:29], v[28:29], v[24:25], v[10:11] neg_lo:[0,0,1] neg_hi:[0,0,1]
	v_pk_fma_f32 v[10:11], v[38:39], v[24:25], v[10:11] op_sel_hi:[0,1,1]
	v_mov_b32_e32 v29, v11
	v_mov_b32_e32 v10, v21
	;; [unrolled: 1-line block ×3, first 2 shown]
	v_pk_mul_f32 v[10:11], v[14:15], v[10:11] op_sel_hi:[0,1]
	v_pk_fma_f32 v[24:25], v[14:15], v[20:21], v[10:11] op_sel:[1,0,0] neg_lo:[0,0,1] neg_hi:[0,0,1]
	v_pk_fma_f32 v[10:11], v[14:15], v[20:21], v[10:11] op_sel:[1,0,0]
	v_mov_b32_e32 v79, v7
	v_mov_b32_e32 v25, v11
	v_pk_add_f32 v[6:7], v[2:3], v[78:79] neg_lo:[0,1] neg_hi:[0,1]
	v_pk_add_f32 v[10:11], v[28:29], v[24:25] neg_lo:[0,1] neg_hi:[0,1]
	v_mov_b32_e32 v53, v63
	v_mov_b32_e32 v59, v33
	v_pk_add_f32 v[20:21], v[6:7], v[10:11] neg_lo:[0,1] neg_hi:[0,1]
	v_pk_add_f32 v[58:59], v[52:53], v[58:59] neg_lo:[0,1] neg_hi:[0,1]
	v_mov_b32_e32 v55, v19
	v_mov_b32_e32 v9, v23
	;; [unrolled: 1-line block ×4, first 2 shown]
	v_pk_add_f32 v[8:9], v[54:55], v[8:9] neg_lo:[0,1] neg_hi:[0,1]
	v_mov_b32_e32 v20, v59
	v_pk_add_f32 v[16:17], v[4:5], v[16:17] neg_lo:[0,1] neg_hi:[0,1]
	v_add_u32_e32 v1, 13, v47
	v_mov_b32_e32 v57, v31
	v_mov_b32_e32 v43, v61
	v_pk_add_f32 v[70:71], v[20:21], v[8:9] neg_lo:[0,1] neg_hi:[0,1]
	v_mov_b32_e32 v20, v9
	v_pk_fma_f32 v[80:81], v[4:5], 2.0, v[16:17] op_sel_hi:[1,0,1] neg_lo:[0,0,1] neg_hi:[0,0,1]
	v_pk_fma_f32 v[4:5], v[52:53], 2.0, v[58:59] op_sel_hi:[1,0,1] neg_lo:[0,0,1] neg_hi:[0,0,1]
	;; [unrolled: 1-line block ×3, first 2 shown]
	v_mad_u64_u32 v[44:45], s[0:1], s12, v1, v[12:13]
	v_mov_b32_e32 v1, v69
	v_mov_b32_e32 v65, v67
	v_pk_add_f32 v[42:43], v[56:57], v[42:43] neg_lo:[0,1] neg_hi:[0,1]
	v_pk_add_f32 v[8:9], v[4:5], v[8:9] neg_lo:[0,1] neg_hi:[0,1]
	v_pk_add_f32 v[24:25], v[0:1], v[64:65] neg_lo:[0,1] neg_hi:[0,1]
	v_pk_fma_f32 v[52:53], v[56:57], 2.0, v[42:43] op_sel_hi:[1,0,1] neg_lo:[0,0,1] neg_hi:[0,0,1]
	v_pk_fma_f32 v[54:55], v[4:5], 2.0, v[8:9] op_sel_hi:[1,0,1] neg_lo:[0,0,1] neg_hi:[0,0,1]
	v_mov_b32_e32 v4, v43
	v_mov_b32_e32 v5, v49
	v_mov_b32_e32 v56, v48
	v_mov_b32_e32 v57, v42
	v_pk_add_f32 v[42:43], v[4:5], v[56:57]
	v_pk_add_f32 v[4:5], v[4:5], v[56:57] neg_lo:[0,1] neg_hi:[0,1]
	v_mov_b32_e32 v56, v17
	v_mov_b32_e32 v57, v25
	;; [unrolled: 1-line block ×4, first 2 shown]
	v_pk_add_f32 v[14:15], v[6:7], v[10:11]
	v_pk_add_f32 v[78:79], v[58:59], v[20:21]
	;; [unrolled: 1-line block ×3, first 2 shown]
	v_mov_b32_e32 v15, v21
	v_pk_add_f32 v[56:57], v[56:57], v[82:83] neg_lo:[0,1] neg_hi:[0,1]
	v_fmamk_f32 v20, v78, 0x3f3504f3, v16
	v_fmamk_f32 v23, v42, 0x3f3504f3, v14
	v_pk_fma_f32 v[64:65], v[6:7], 2.0, v[14:15] op_sel_hi:[1,0,1] neg_lo:[0,0,1] neg_hi:[0,0,1]
	v_fmamk_f32 v13, v5, 0x3f3504f3, v21
	v_fmamk_f32 v15, v70, 0x3f3504f3, v57
	v_fmac_f32_e32 v20, 0x3f3504f3, v70
	v_fmac_f32_e32 v23, 0x3f3504f3, v5
	;; [unrolled: 1-line block ×4, first 2 shown]
	v_fmamk_f32 v27, v20, 0x3f6c835e, v23
	v_fmamk_f32 v19, v15, 0x3f6c835e, v13
	v_fmac_f32_e32 v27, 0x3ec3ef15, v15
	v_fmac_f32_e32 v19, 0xbec3ef15, v20
	v_mul_f32_e32 v4, v27, v34
	v_mov_b32_e32 v43, v5
	v_fma_f32 v5, v19, v32, -v4
	v_mul_f32_e32 v4, v19, v34
	v_fmac_f32_e32 v4, v27, v32
	v_pk_fma_f32 v[2:3], v[2:3], 2.0, v[6:7] op_sel_hi:[1,0,1] neg_lo:[0,0,1] neg_hi:[0,0,1]
	v_pk_fma_f32 v[6:7], v[28:29], 2.0, v[10:11] op_sel_hi:[1,0,1] neg_lo:[0,0,1] neg_hi:[0,0,1]
	;; [unrolled: 1-line block ×4, first 2 shown]
	v_pk_add_f32 v[6:7], v[2:3], v[6:7] op_sel:[0,1] op_sel_hi:[1,0] neg_lo:[0,1] neg_hi:[0,1]
	v_pk_add_f32 v[28:29], v[10:11], v[52:53] neg_lo:[0,1] neg_hi:[0,1]
	v_pk_add_f32 v[34:35], v[32:33], v[80:81] neg_lo:[0,1] neg_hi:[0,1]
	v_add_f32_e32 v53, v6, v29
	v_add_f32_e32 v52, v34, v9
	v_sub_f32_e32 v31, v7, v28
	v_sub_f32_e32 v38, v35, v8
	v_fmamk_f32 v56, v52, 0x3f3504f3, v53
	v_fmamk_f32 v46, v38, 0x3f3504f3, v31
	v_fmac_f32_e32 v56, 0x3f3504f3, v38
	v_mov_b32_e32 v17, v57
	v_fmac_f32_e32 v46, 0xbf3504f3, v52
	v_mul_f32_e32 v0, v56, v60
	v_mov_b32_e32 v79, v70
	v_fma_f32 v1, v46, v36, -v0
	v_mul_f32_e32 v0, v46, v60
	v_pk_fma_f32 v[8:9], v[48:49], 2.0, v[42:43] op_sel_hi:[1,0,1] neg_lo:[0,0,1] neg_hi:[0,0,1]
	v_pk_fma_f32 v[42:43], v[58:59], 2.0, v[78:79] op_sel_hi:[1,0,1] neg_lo:[0,0,1] neg_hi:[0,0,1]
	;; [unrolled: 1-line block ×3, first 2 shown]
	v_fmac_f32_e32 v0, v56, v36
	v_pk_mul_f32 v[36:37], v[8:9], s[2:3] op_sel_hi:[1,0]
	v_pk_mul_f32 v[48:49], v[42:43], s[2:3] op_sel_hi:[1,0]
	v_pk_fma_f32 v[42:43], v[42:43], s[2:3], v[24:25] op_sel_hi:[1,0,1] neg_lo:[1,0,0] neg_hi:[1,0,0]
	v_pk_fma_f32 v[8:9], v[8:9], s[2:3], v[64:65] op_sel_hi:[1,0,1] neg_lo:[1,0,0] neg_hi:[1,0,0]
	v_pk_add_f32 v[50:51], v[42:43], v[48:49] op_sel:[0,1] op_sel_hi:[1,0]
	v_pk_add_f32 v[42:43], v[42:43], v[48:49] op_sel:[0,1] op_sel_hi:[1,0] neg_lo:[0,1] neg_hi:[0,1]
	v_pk_add_f32 v[48:49], v[8:9], v[36:37] op_sel:[0,1] op_sel_hi:[1,0]
	v_pk_add_f32 v[8:9], v[8:9], v[36:37] op_sel:[0,1] op_sel_hi:[1,0] neg_lo:[0,1] neg_hi:[0,1]
	v_fmamk_f32 v58, v50, 0x3ec3ef15, v48
	v_pk_fma_f32 v[2:3], v[2:3], 2.0, v[6:7] op_sel_hi:[1,0,1] neg_lo:[0,0,1] neg_hi:[0,0,1]
	v_pk_fma_f32 v[10:11], v[10:11], 2.0, v[28:29] op_sel_hi:[1,0,1] neg_lo:[0,0,1] neg_hi:[0,0,1]
	v_pk_fma_f32 v[28:29], v[32:33], 2.0, v[34:35] op_sel_hi:[1,0,1] neg_lo:[0,0,1] neg_hi:[0,0,1]
	v_fmamk_f32 v8, v43, 0x3ec3ef15, v9
	v_fmac_f32_e32 v58, 0x3f6c835e, v43
	v_pk_add_f32 v[10:11], v[2:3], v[10:11] neg_lo:[0,1] neg_hi:[0,1]
	v_pk_add_f32 v[32:33], v[28:29], v[54:55] neg_lo:[0,1] neg_hi:[0,1]
	v_fmac_f32_e32 v8, 0xbf6c835e, v50
	v_mul_f32_e32 v17, v58, v72
	v_sub_f32_e32 v54, v11, v32
	v_add_f32_e32 v55, v10, v33
	v_fma_f32 v37, v8, v66, -v17
	v_mul_f32_e32 v17, v55, v68
	v_mul_f32_e32 v42, v54, v68
	v_fma_f32 v59, v21, 2.0, -v13
	v_fma_f32 v15, v57, 2.0, -v15
	v_mov_b32_e32 v51, v43
	v_fma_f32 v43, v54, v62, -v17
	v_fmac_f32_e32 v42, v55, v62
	v_fmamk_f32 v57, v15, 0xbec3ef15, v59
	v_fma_f32 v16, v16, 2.0, -v20
	v_fma_f32 v60, v14, 2.0, -v23
	;; [unrolled: 1-line block ×4, first 2 shown]
	v_mov_b32_e32 v49, v9
	v_fmac_f32_e32 v57, 0xbf6c835e, v16
	v_fmamk_f32 v61, v16, 0xbec3ef15, v60
	v_fmamk_f32 v38, v7, 0xbf3504f3, v62
	v_fma_f32 v16, v34, 2.0, -v52
	v_fma_f32 v52, v6, 2.0, -v53
	s_mov_b32 s0, 0x3ec3ef15
	s_mov_b32 s2, 0xbf6c835e
	v_fmac_f32_e32 v38, 0xbf3504f3, v16
	v_fmamk_f32 v63, v16, 0xbf3504f3, v52
	v_pk_fma_f32 v[16:17], v[24:25], 2.0, v[50:51] op_sel_hi:[1,0,1] neg_lo:[0,0,1] neg_hi:[0,0,1]
	v_pk_fma_f32 v[24:25], v[64:65], 2.0, v[48:49] op_sel_hi:[1,0,1] neg_lo:[0,0,1] neg_hi:[0,0,1]
	v_pk_mul_f32 v[20:21], v[16:17], s[0:1] op_sel_hi:[1,0]
	v_pk_fma_f32 v[16:17], v[16:17], s[2:3], v[24:25] op_sel_hi:[1,0,1]
	v_fma_f32 v13, v13, 2.0, -v19
	v_pk_add_f32 v[34:35], v[16:17], v[20:21] op_sel:[0,1] op_sel_hi:[1,0]
	v_pk_add_f32 v[16:17], v[16:17], v[20:21] op_sel:[0,1] op_sel_hi:[1,0] neg_lo:[0,1] neg_hi:[0,1]
	v_fma_f32 v19, v23, 2.0, -v27
	v_mul_f32_e32 v16, v34, v84
	v_mov_b32_e32 v35, v17
	v_fma_f32 v21, v17, v77, -v16
	v_mul_f32_e32 v20, v17, v84
	v_pk_fma_f32 v[16:17], v[28:29], 2.0, v[32:33] op_sel_hi:[1,0,1] neg_lo:[0,0,1] neg_hi:[0,0,1]
	v_mul_f32_e32 v32, v13, v88
	v_mul_f32_e32 v23, v19, v88
	v_fmac_f32_e32 v32, v19, v87
	v_fma_f32 v19, v53, 2.0, -v56
	v_fma_f32 v33, v13, v87, -v23
	v_fma_f32 v13, v31, 2.0, -v46
	v_mul_f32_e32 v23, v19, v90
	v_fma_f32 v51, v13, v89, -v23
	v_mul_f32_e32 v50, v13, v90
	v_fma_f32 v13, v48, 2.0, -v58
	v_mul_f32_e32 v36, v8, v72
	v_fma_f32 v8, v9, 2.0, -v8
	v_mul_f32_e32 v9, v13, v92
	v_fmac_f32_e32 v50, v19, v89
	v_fma_f32 v9, v8, v91, -v9
	v_mul_f32_e32 v8, v8, v92
	v_fma_f32 v19, v10, 2.0, -v55
	v_pk_fma_f32 v[2:3], v[2:3], 2.0, v[10:11] op_sel_hi:[1,0,1] neg_lo:[0,0,1] neg_hi:[0,0,1]
	v_fmac_f32_e32 v8, v13, v91
	v_fma_f32 v13, v11, 2.0, -v54
	v_mul_f32_e32 v10, v19, v94
	v_fmac_f32_e32 v61, 0x3f6c835e, v15
	v_fma_f32 v11, v13, v93, -v10
	v_mul_f32_e32 v10, v13, v94
	v_fma_f32 v13, v59, 2.0, -v57
	v_fmac_f32_e32 v63, 0x3f3504f3, v7
	v_pk_add_f32 v[16:17], v[2:3], v[16:17] neg_lo:[0,1] neg_hi:[0,1]
	v_fmac_f32_e32 v10, v19, v93
	v_fma_f32 v19, v60, 2.0, -v61
	v_mul_f32_e32 v48, v13, v96
	v_mul_f32_e32 v28, v16, v86
	;; [unrolled: 1-line block ×3, first 2 shown]
	v_fmac_f32_e32 v48, v19, v95
	v_fma_f32 v19, v52, 2.0, -v63
	v_fma_f32 v29, v17, v85, -v28
	v_mul_f32_e32 v28, v17, v86
	v_fma_f32 v49, v13, v95, -v23
	v_fma_f32 v13, v62, 2.0, -v38
	v_mul_f32_e32 v23, v19, v98
	v_pk_fma_f32 v[24:25], v[24:25], 2.0, v[34:35] op_sel_hi:[1,0,1] neg_lo:[0,0,1] neg_hi:[0,0,1]
	v_pk_fma_f32 v[2:3], v[2:3], 2.0, v[16:17] op_sel_hi:[1,0,1] neg_lo:[0,0,1] neg_hi:[0,0,1]
	v_fmac_f32_e32 v28, v16, v85
	v_fma_f32 v53, v13, v97, -v23
	v_mul_f32_e32 v52, v13, v98
	v_pk_mul_f32 v[22:23], v[22:23], v[24:25] op_sel_hi:[0,1]
	v_pk_mul_f32 v[16:17], v[2:3], v[30:31] op_sel_hi:[1,0]
	v_fmac_f32_e32 v20, v34, v77
	v_fmac_f32_e32 v52, v19, v97
	v_pk_fma_f32 v[34:35], v[18:19], v[24:25], v[22:23] op_sel:[0,0,1] op_sel_hi:[1,1,0]
	v_pk_fma_f32 v[18:19], v[18:19], v[24:25], v[22:23] op_sel:[0,0,1] op_sel_hi:[0,1,0] neg_lo:[0,0,1] neg_hi:[0,0,1]
	v_pk_fma_f32 v[22:23], v[2:3], v[26:27], v[16:17] op_sel:[0,0,1] op_sel_hi:[1,1,0]
	v_pk_fma_f32 v[2:3], v[2:3], v[26:27], v[16:17] op_sel:[0,0,1] op_sel_hi:[1,0,0] neg_lo:[0,0,1] neg_hi:[0,0,1]
	v_mov_b32_e32 v45, v39
	v_add_u32_e32 v2, 26, v47
	v_mov_b32_e32 v23, v3
	v_mad_u64_u32 v[2:3], s[0:1], s12, v2, v[12:13]
	v_mov_b32_e32 v3, v39
	v_lshl_add_u64 v[44:45], v[44:45], 3, s[16:17]
	v_mov_b32_e32 v35, v19
	v_lshl_add_u64 v[2:3], v[2:3], 3, s[16:17]
	global_store_dwordx2 v[40:41], v[22:23], off
	global_store_dwordx2 v[44:45], v[34:35], off
	;; [unrolled: 1-line block ×3, first 2 shown]
	v_add_u32_e32 v2, 39, v47
	v_mad_u64_u32 v[2:3], s[0:1], s12, v2, v[12:13]
	v_mov_b32_e32 v3, v39
	v_lshl_add_u64 v[2:3], v[2:3], 3, s[16:17]
	global_store_dwordx2 v[2:3], v[48:49], off
	v_add_u32_e32 v2, 52, v47
	v_mad_u64_u32 v[2:3], s[0:1], s12, v2, v[12:13]
	v_mov_b32_e32 v3, v39
	v_lshl_add_u64 v[2:3], v[2:3], 3, s[16:17]
	global_store_dwordx2 v[2:3], v[10:11], off
	;; [unrolled: 5-line block ×7, first 2 shown]
	v_add_u32_e32 v2, 0x82, v47
	v_mul_f32_e32 v6, v63, v76
	v_mad_u64_u32 v[2:3], s[0:1], s12, v2, v[12:13]
	v_fma_f32 v7, v38, v75, -v6
	v_mul_f32_e32 v6, v38, v76
	v_mov_b32_e32 v3, v39
	v_fmac_f32_e32 v6, v63, v75
	v_lshl_add_u64 v[2:3], v[2:3], 3, s[16:17]
	global_store_dwordx2 v[2:3], v[6:7], off
	v_add_u32_e32 v2, 0x8f, v47
	v_mul_f32_e32 v14, v61, v74
	v_mad_u64_u32 v[2:3], s[0:1], s12, v2, v[12:13]
	v_fma_f32 v15, v57, v73, -v14
	v_mul_f32_e32 v14, v57, v74
	v_mov_b32_e32 v3, v39
	v_fmac_f32_e32 v14, v61, v73
	v_lshl_add_u64 v[2:3], v[2:3], 3, s[16:17]
	global_store_dwordx2 v[2:3], v[14:15], off
	v_add_u32_e32 v2, 0x9c, v47
	v_mad_u64_u32 v[2:3], s[0:1], s12, v2, v[12:13]
	v_mov_b32_e32 v3, v39
	v_lshl_add_u64 v[2:3], v[2:3], 3, s[16:17]
	global_store_dwordx2 v[2:3], v[42:43], off
	v_add_u32_e32 v2, 0xa9, v47
	v_mad_u64_u32 v[2:3], s[0:1], s12, v2, v[12:13]
	v_mov_b32_e32 v3, v39
	v_fmac_f32_e32 v36, v58, v66
	v_lshl_add_u64 v[2:3], v[2:3], 3, s[16:17]
	global_store_dwordx2 v[2:3], v[36:37], off
	v_add_u32_e32 v2, 0xb6, v47
	v_mad_u64_u32 v[2:3], s[0:1], s12, v2, v[12:13]
	v_mov_b32_e32 v3, v39
	v_lshl_add_u64 v[2:3], v[2:3], 3, s[16:17]
	global_store_dwordx2 v[2:3], v[0:1], off
	v_add_u32_e32 v0, 0xc3, v47
	v_mad_u64_u32 v[0:1], s[0:1], s12, v0, v[12:13]
	v_mov_b32_e32 v1, v39
	v_lshl_add_u64 v[0:1], v[0:1], 3, s[16:17]
	global_store_dwordx2 v[0:1], v[4:5], off
.LBB0_44:
	s_endpgm
	.section	.rodata,"a",@progbits
	.p2align	6, 0x0
	.amdhsa_kernel fft_rtc_back_len208_factors_13_16_wgs_144_tpt_16_sp_ip_CI_sbcc_twdbase5_3step_dirReg_intrinsicReadWrite
		.amdhsa_group_segment_fixed_size 0
		.amdhsa_private_segment_fixed_size 0
		.amdhsa_kernarg_size 96
		.amdhsa_user_sgpr_count 2
		.amdhsa_user_sgpr_dispatch_ptr 0
		.amdhsa_user_sgpr_queue_ptr 0
		.amdhsa_user_sgpr_kernarg_segment_ptr 1
		.amdhsa_user_sgpr_dispatch_id 0
		.amdhsa_user_sgpr_kernarg_preload_length 0
		.amdhsa_user_sgpr_kernarg_preload_offset 0
		.amdhsa_user_sgpr_private_segment_size 0
		.amdhsa_uses_dynamic_stack 0
		.amdhsa_enable_private_segment 0
		.amdhsa_system_sgpr_workgroup_id_x 1
		.amdhsa_system_sgpr_workgroup_id_y 0
		.amdhsa_system_sgpr_workgroup_id_z 0
		.amdhsa_system_sgpr_workgroup_info 0
		.amdhsa_system_vgpr_workitem_id 0
		.amdhsa_next_free_vgpr 140
		.amdhsa_next_free_sgpr 56
		.amdhsa_accum_offset 140
		.amdhsa_reserve_vcc 1
		.amdhsa_float_round_mode_32 0
		.amdhsa_float_round_mode_16_64 0
		.amdhsa_float_denorm_mode_32 3
		.amdhsa_float_denorm_mode_16_64 3
		.amdhsa_dx10_clamp 1
		.amdhsa_ieee_mode 1
		.amdhsa_fp16_overflow 0
		.amdhsa_tg_split 0
		.amdhsa_exception_fp_ieee_invalid_op 0
		.amdhsa_exception_fp_denorm_src 0
		.amdhsa_exception_fp_ieee_div_zero 0
		.amdhsa_exception_fp_ieee_overflow 0
		.amdhsa_exception_fp_ieee_underflow 0
		.amdhsa_exception_fp_ieee_inexact 0
		.amdhsa_exception_int_div_zero 0
	.end_amdhsa_kernel
	.text
.Lfunc_end0:
	.size	fft_rtc_back_len208_factors_13_16_wgs_144_tpt_16_sp_ip_CI_sbcc_twdbase5_3step_dirReg_intrinsicReadWrite, .Lfunc_end0-fft_rtc_back_len208_factors_13_16_wgs_144_tpt_16_sp_ip_CI_sbcc_twdbase5_3step_dirReg_intrinsicReadWrite
                                        ; -- End function
	.section	.AMDGPU.csdata,"",@progbits
; Kernel info:
; codeLenInByte = 9904
; NumSgprs: 62
; NumVgprs: 140
; NumAgprs: 0
; TotalNumVgprs: 140
; ScratchSize: 0
; MemoryBound: 0
; FloatMode: 240
; IeeeMode: 1
; LDSByteSize: 0 bytes/workgroup (compile time only)
; SGPRBlocks: 7
; VGPRBlocks: 17
; NumSGPRsForWavesPerEU: 62
; NumVGPRsForWavesPerEU: 140
; AccumOffset: 140
; Occupancy: 3
; WaveLimiterHint : 1
; COMPUTE_PGM_RSRC2:SCRATCH_EN: 0
; COMPUTE_PGM_RSRC2:USER_SGPR: 2
; COMPUTE_PGM_RSRC2:TRAP_HANDLER: 0
; COMPUTE_PGM_RSRC2:TGID_X_EN: 1
; COMPUTE_PGM_RSRC2:TGID_Y_EN: 0
; COMPUTE_PGM_RSRC2:TGID_Z_EN: 0
; COMPUTE_PGM_RSRC2:TIDIG_COMP_CNT: 0
; COMPUTE_PGM_RSRC3_GFX90A:ACCUM_OFFSET: 34
; COMPUTE_PGM_RSRC3_GFX90A:TG_SPLIT: 0
	.text
	.p2alignl 6, 3212836864
	.fill 256, 4, 3212836864
	.type	__hip_cuid_15dcf16e11825e9c,@object ; @__hip_cuid_15dcf16e11825e9c
	.section	.bss,"aw",@nobits
	.globl	__hip_cuid_15dcf16e11825e9c
__hip_cuid_15dcf16e11825e9c:
	.byte	0                               ; 0x0
	.size	__hip_cuid_15dcf16e11825e9c, 1

	.ident	"AMD clang version 19.0.0git (https://github.com/RadeonOpenCompute/llvm-project roc-6.4.0 25133 c7fe45cf4b819c5991fe208aaa96edf142730f1d)"
	.section	".note.GNU-stack","",@progbits
	.addrsig
	.addrsig_sym __hip_cuid_15dcf16e11825e9c
	.amdgpu_metadata
---
amdhsa.kernels:
  - .agpr_count:     0
    .args:
      - .actual_access:  read_only
        .address_space:  global
        .offset:         0
        .size:           8
        .value_kind:     global_buffer
      - .address_space:  global
        .offset:         8
        .size:           8
        .value_kind:     global_buffer
      - .offset:         16
        .size:           8
        .value_kind:     by_value
      - .actual_access:  read_only
        .address_space:  global
        .offset:         24
        .size:           8
        .value_kind:     global_buffer
      - .actual_access:  read_only
        .address_space:  global
        .offset:         32
        .size:           8
        .value_kind:     global_buffer
      - .offset:         40
        .size:           8
        .value_kind:     by_value
      - .actual_access:  read_only
        .address_space:  global
        .offset:         48
        .size:           8
        .value_kind:     global_buffer
      - .actual_access:  read_only
        .address_space:  global
        .offset:         56
        .size:           8
        .value_kind:     global_buffer
      - .offset:         64
        .size:           4
        .value_kind:     by_value
      - .actual_access:  read_only
        .address_space:  global
        .offset:         72
        .size:           8
        .value_kind:     global_buffer
      - .actual_access:  read_only
        .address_space:  global
        .offset:         80
        .size:           8
        .value_kind:     global_buffer
      - .address_space:  global
        .offset:         88
        .size:           8
        .value_kind:     global_buffer
    .group_segment_fixed_size: 0
    .kernarg_segment_align: 8
    .kernarg_segment_size: 96
    .language:       OpenCL C
    .language_version:
      - 2
      - 0
    .max_flat_workgroup_size: 144
    .name:           fft_rtc_back_len208_factors_13_16_wgs_144_tpt_16_sp_ip_CI_sbcc_twdbase5_3step_dirReg_intrinsicReadWrite
    .private_segment_fixed_size: 0
    .sgpr_count:     62
    .sgpr_spill_count: 0
    .symbol:         fft_rtc_back_len208_factors_13_16_wgs_144_tpt_16_sp_ip_CI_sbcc_twdbase5_3step_dirReg_intrinsicReadWrite.kd
    .uniform_work_group_size: 1
    .uses_dynamic_stack: false
    .vgpr_count:     140
    .vgpr_spill_count: 0
    .wavefront_size: 64
amdhsa.target:   amdgcn-amd-amdhsa--gfx950
amdhsa.version:
  - 1
  - 2
...

	.end_amdgpu_metadata
